;; amdgpu-corpus repo=ROCm/rocFFT kind=compiled arch=gfx1030 opt=O3
	.text
	.amdgcn_target "amdgcn-amd-amdhsa--gfx1030"
	.amdhsa_code_object_version 6
	.protected	fft_rtc_back_len1530_factors_17_3_6_5_wgs_102_tpt_102_halfLds_dp_op_CI_CI_unitstride_sbrr_dirReg ; -- Begin function fft_rtc_back_len1530_factors_17_3_6_5_wgs_102_tpt_102_halfLds_dp_op_CI_CI_unitstride_sbrr_dirReg
	.globl	fft_rtc_back_len1530_factors_17_3_6_5_wgs_102_tpt_102_halfLds_dp_op_CI_CI_unitstride_sbrr_dirReg
	.p2align	8
	.type	fft_rtc_back_len1530_factors_17_3_6_5_wgs_102_tpt_102_halfLds_dp_op_CI_CI_unitstride_sbrr_dirReg,@function
fft_rtc_back_len1530_factors_17_3_6_5_wgs_102_tpt_102_halfLds_dp_op_CI_CI_unitstride_sbrr_dirReg: ; @fft_rtc_back_len1530_factors_17_3_6_5_wgs_102_tpt_102_halfLds_dp_op_CI_CI_unitstride_sbrr_dirReg
; %bb.0:
	s_clause 0x2
	s_load_dwordx4 s[12:15], s[4:5], 0x0
	s_load_dwordx4 s[8:11], s[4:5], 0x58
	;; [unrolled: 1-line block ×3, first 2 shown]
	v_mul_u32_u24_e32 v1, 0x283, v0
	v_mov_b32_e32 v3, 0
	v_add_nc_u32_sdwa v5, s6, v1 dst_sel:DWORD dst_unused:UNUSED_PAD src0_sel:DWORD src1_sel:WORD_1
	v_mov_b32_e32 v1, 0
	v_mov_b32_e32 v6, v3
	v_mov_b32_e32 v2, 0
	s_waitcnt lgkmcnt(0)
	v_cmp_lt_u64_e64 s0, s[14:15], 2
	s_and_b32 vcc_lo, exec_lo, s0
	s_cbranch_vccnz .LBB0_8
; %bb.1:
	s_load_dwordx2 s[0:1], s[4:5], 0x10
	v_mov_b32_e32 v1, 0
	v_mov_b32_e32 v2, 0
	s_add_u32 s2, s18, 8
	s_addc_u32 s3, s19, 0
	s_add_u32 s6, s16, 8
	s_addc_u32 s7, s17, 0
	v_mov_b32_e32 v101, v2
	v_mov_b32_e32 v100, v1
	s_mov_b64 s[22:23], 1
	s_waitcnt lgkmcnt(0)
	s_add_u32 s20, s0, 8
	s_addc_u32 s21, s1, 0
.LBB0_2:                                ; =>This Inner Loop Header: Depth=1
	s_load_dwordx2 s[24:25], s[20:21], 0x0
                                        ; implicit-def: $vgpr104_vgpr105
	s_mov_b32 s0, exec_lo
	s_waitcnt lgkmcnt(0)
	v_or_b32_e32 v4, s25, v6
	v_cmpx_ne_u64_e32 0, v[3:4]
	s_xor_b32 s1, exec_lo, s0
	s_cbranch_execz .LBB0_4
; %bb.3:                                ;   in Loop: Header=BB0_2 Depth=1
	v_cvt_f32_u32_e32 v4, s24
	v_cvt_f32_u32_e32 v7, s25
	s_sub_u32 s0, 0, s24
	s_subb_u32 s26, 0, s25
	v_fmac_f32_e32 v4, 0x4f800000, v7
	v_rcp_f32_e32 v4, v4
	v_mul_f32_e32 v4, 0x5f7ffffc, v4
	v_mul_f32_e32 v7, 0x2f800000, v4
	v_trunc_f32_e32 v7, v7
	v_fmac_f32_e32 v4, 0xcf800000, v7
	v_cvt_u32_f32_e32 v7, v7
	v_cvt_u32_f32_e32 v4, v4
	v_mul_lo_u32 v8, s0, v7
	v_mul_hi_u32 v9, s0, v4
	v_mul_lo_u32 v10, s26, v4
	v_add_nc_u32_e32 v8, v9, v8
	v_mul_lo_u32 v9, s0, v4
	v_add_nc_u32_e32 v8, v8, v10
	v_mul_hi_u32 v10, v4, v9
	v_mul_lo_u32 v11, v4, v8
	v_mul_hi_u32 v12, v4, v8
	v_mul_hi_u32 v13, v7, v9
	v_mul_lo_u32 v9, v7, v9
	v_mul_hi_u32 v14, v7, v8
	v_mul_lo_u32 v8, v7, v8
	v_add_co_u32 v10, vcc_lo, v10, v11
	v_add_co_ci_u32_e32 v11, vcc_lo, 0, v12, vcc_lo
	v_add_co_u32 v9, vcc_lo, v10, v9
	v_add_co_ci_u32_e32 v9, vcc_lo, v11, v13, vcc_lo
	v_add_co_ci_u32_e32 v10, vcc_lo, 0, v14, vcc_lo
	v_add_co_u32 v8, vcc_lo, v9, v8
	v_add_co_ci_u32_e32 v9, vcc_lo, 0, v10, vcc_lo
	v_add_co_u32 v4, vcc_lo, v4, v8
	v_add_co_ci_u32_e32 v7, vcc_lo, v7, v9, vcc_lo
	v_mul_hi_u32 v8, s0, v4
	v_mul_lo_u32 v10, s26, v4
	v_mul_lo_u32 v9, s0, v7
	v_add_nc_u32_e32 v8, v8, v9
	v_mul_lo_u32 v9, s0, v4
	v_add_nc_u32_e32 v8, v8, v10
	v_mul_hi_u32 v10, v4, v9
	v_mul_lo_u32 v11, v4, v8
	v_mul_hi_u32 v12, v4, v8
	v_mul_hi_u32 v13, v7, v9
	v_mul_lo_u32 v9, v7, v9
	v_mul_hi_u32 v14, v7, v8
	v_mul_lo_u32 v8, v7, v8
	v_add_co_u32 v10, vcc_lo, v10, v11
	v_add_co_ci_u32_e32 v11, vcc_lo, 0, v12, vcc_lo
	v_add_co_u32 v9, vcc_lo, v10, v9
	v_add_co_ci_u32_e32 v9, vcc_lo, v11, v13, vcc_lo
	v_add_co_ci_u32_e32 v10, vcc_lo, 0, v14, vcc_lo
	v_add_co_u32 v8, vcc_lo, v9, v8
	v_add_co_ci_u32_e32 v9, vcc_lo, 0, v10, vcc_lo
	v_add_co_u32 v4, vcc_lo, v4, v8
	v_add_co_ci_u32_e32 v11, vcc_lo, v7, v9, vcc_lo
	v_mul_hi_u32 v13, v5, v4
	v_mad_u64_u32 v[9:10], null, v6, v4, 0
	v_mad_u64_u32 v[7:8], null, v5, v11, 0
	;; [unrolled: 1-line block ×3, first 2 shown]
	v_add_co_u32 v4, vcc_lo, v13, v7
	v_add_co_ci_u32_e32 v7, vcc_lo, 0, v8, vcc_lo
	v_add_co_u32 v4, vcc_lo, v4, v9
	v_add_co_ci_u32_e32 v4, vcc_lo, v7, v10, vcc_lo
	v_add_co_ci_u32_e32 v7, vcc_lo, 0, v12, vcc_lo
	v_add_co_u32 v4, vcc_lo, v4, v11
	v_add_co_ci_u32_e32 v9, vcc_lo, 0, v7, vcc_lo
	v_mul_lo_u32 v10, s25, v4
	v_mad_u64_u32 v[7:8], null, s24, v4, 0
	v_mul_lo_u32 v11, s24, v9
	v_sub_co_u32 v7, vcc_lo, v5, v7
	v_add3_u32 v8, v8, v11, v10
	v_sub_nc_u32_e32 v10, v6, v8
	v_subrev_co_ci_u32_e64 v10, s0, s25, v10, vcc_lo
	v_add_co_u32 v11, s0, v4, 2
	v_add_co_ci_u32_e64 v12, s0, 0, v9, s0
	v_sub_co_u32 v13, s0, v7, s24
	v_sub_co_ci_u32_e32 v8, vcc_lo, v6, v8, vcc_lo
	v_subrev_co_ci_u32_e64 v10, s0, 0, v10, s0
	v_cmp_le_u32_e32 vcc_lo, s24, v13
	v_cmp_eq_u32_e64 s0, s25, v8
	v_cndmask_b32_e64 v13, 0, -1, vcc_lo
	v_cmp_le_u32_e32 vcc_lo, s25, v10
	v_cndmask_b32_e64 v14, 0, -1, vcc_lo
	v_cmp_le_u32_e32 vcc_lo, s24, v7
	;; [unrolled: 2-line block ×3, first 2 shown]
	v_cndmask_b32_e64 v15, 0, -1, vcc_lo
	v_cmp_eq_u32_e32 vcc_lo, s25, v10
	v_cndmask_b32_e64 v7, v15, v7, s0
	v_cndmask_b32_e32 v10, v14, v13, vcc_lo
	v_add_co_u32 v13, vcc_lo, v4, 1
	v_add_co_ci_u32_e32 v14, vcc_lo, 0, v9, vcc_lo
	v_cmp_ne_u32_e32 vcc_lo, 0, v10
	v_cndmask_b32_e32 v8, v14, v12, vcc_lo
	v_cndmask_b32_e32 v10, v13, v11, vcc_lo
	v_cmp_ne_u32_e32 vcc_lo, 0, v7
	v_cndmask_b32_e32 v105, v9, v8, vcc_lo
	v_cndmask_b32_e32 v104, v4, v10, vcc_lo
.LBB0_4:                                ;   in Loop: Header=BB0_2 Depth=1
	s_andn2_saveexec_b32 s0, s1
	s_cbranch_execz .LBB0_6
; %bb.5:                                ;   in Loop: Header=BB0_2 Depth=1
	v_cvt_f32_u32_e32 v4, s24
	s_sub_i32 s1, 0, s24
	v_mov_b32_e32 v105, v3
	v_rcp_iflag_f32_e32 v4, v4
	v_mul_f32_e32 v4, 0x4f7ffffe, v4
	v_cvt_u32_f32_e32 v4, v4
	v_mul_lo_u32 v7, s1, v4
	v_mul_hi_u32 v7, v4, v7
	v_add_nc_u32_e32 v4, v4, v7
	v_mul_hi_u32 v4, v5, v4
	v_mul_lo_u32 v7, v4, s24
	v_add_nc_u32_e32 v8, 1, v4
	v_sub_nc_u32_e32 v7, v5, v7
	v_subrev_nc_u32_e32 v9, s24, v7
	v_cmp_le_u32_e32 vcc_lo, s24, v7
	v_cndmask_b32_e32 v7, v7, v9, vcc_lo
	v_cndmask_b32_e32 v4, v4, v8, vcc_lo
	v_cmp_le_u32_e32 vcc_lo, s24, v7
	v_add_nc_u32_e32 v8, 1, v4
	v_cndmask_b32_e32 v104, v4, v8, vcc_lo
.LBB0_6:                                ;   in Loop: Header=BB0_2 Depth=1
	s_or_b32 exec_lo, exec_lo, s0
	v_mul_lo_u32 v4, v105, s24
	v_mul_lo_u32 v9, v104, s25
	s_load_dwordx2 s[0:1], s[6:7], 0x0
	v_mad_u64_u32 v[7:8], null, v104, s24, 0
	s_load_dwordx2 s[24:25], s[2:3], 0x0
	s_add_u32 s22, s22, 1
	s_addc_u32 s23, s23, 0
	s_add_u32 s2, s2, 8
	s_addc_u32 s3, s3, 0
	s_add_u32 s6, s6, 8
	v_add3_u32 v4, v8, v9, v4
	v_sub_co_u32 v5, vcc_lo, v5, v7
	s_addc_u32 s7, s7, 0
	s_add_u32 s20, s20, 8
	v_sub_co_ci_u32_e32 v4, vcc_lo, v6, v4, vcc_lo
	s_addc_u32 s21, s21, 0
	s_waitcnt lgkmcnt(0)
	v_mul_lo_u32 v6, s0, v4
	v_mul_lo_u32 v7, s1, v5
	v_mad_u64_u32 v[1:2], null, s0, v5, v[1:2]
	v_mul_lo_u32 v4, s24, v4
	v_mul_lo_u32 v8, s25, v5
	v_mad_u64_u32 v[100:101], null, s24, v5, v[100:101]
	v_cmp_ge_u64_e64 s0, s[22:23], s[14:15]
	v_add3_u32 v2, v7, v2, v6
	v_add3_u32 v101, v8, v101, v4
	s_and_b32 vcc_lo, exec_lo, s0
	s_cbranch_vccnz .LBB0_9
; %bb.7:                                ;   in Loop: Header=BB0_2 Depth=1
	v_mov_b32_e32 v5, v104
	v_mov_b32_e32 v6, v105
	s_branch .LBB0_2
.LBB0_8:
	v_mov_b32_e32 v101, v2
	v_mov_b32_e32 v105, v6
	;; [unrolled: 1-line block ×4, first 2 shown]
.LBB0_9:
	s_load_dwordx2 s[0:1], s[4:5], 0x28
	v_mul_hi_u32 v3, 0x2828283, v0
	s_lshl_b64 s[4:5], s[14:15], 3
                                        ; implicit-def: $vgpr10_vgpr11
                                        ; implicit-def: $vgpr14_vgpr15
                                        ; implicit-def: $vgpr18_vgpr19
                                        ; implicit-def: $vgpr22_vgpr23
                                        ; implicit-def: $vgpr30_vgpr31
                                        ; implicit-def: $vgpr38_vgpr39
                                        ; implicit-def: $vgpr46_vgpr47
                                        ; implicit-def: $vgpr26_vgpr27
                                        ; implicit-def: $vgpr34_vgpr35
                                        ; implicit-def: $vgpr42_vgpr43
                                        ; implicit-def: $vgpr50_vgpr51
                                        ; implicit-def: $vgpr54_vgpr55
                                        ; implicit-def: $vgpr58_vgpr59
                                        ; implicit-def: $vgpr62_vgpr63
                                        ; implicit-def: $vgpr70_vgpr71
                                        ; implicit-def: $vgpr66_vgpr67
                                        ; implicit-def: $vgpr4_vgpr5
	s_add_u32 s2, s18, s4
	s_addc_u32 s3, s19, s5
	v_mul_u32_u24_e32 v3, 0x66, v3
	v_sub_nc_u32_e32 v102, v0, v3
	s_waitcnt lgkmcnt(0)
	v_cmp_gt_u64_e32 vcc_lo, s[0:1], v[104:105]
	v_cmp_gt_u32_e64 s0, 0x5a, v102
	s_and_b32 s1, vcc_lo, s0
	s_and_saveexec_b32 s6, s1
	s_cbranch_execz .LBB0_11
; %bb.10:
	s_add_u32 s4, s16, s4
	s_addc_u32 s5, s17, s5
	v_mov_b32_e32 v103, 0
	s_load_dwordx2 s[4:5], s[4:5], 0x0
	s_waitcnt lgkmcnt(0)
	v_mul_lo_u32 v0, s5, v104
	v_mul_lo_u32 v5, s4, v105
	v_mad_u64_u32 v[3:4], null, s4, v104, 0
	v_add3_u32 v4, v4, v5, v0
	v_lshlrev_b64 v[0:1], 4, v[1:2]
	v_lshlrev_b64 v[3:4], 4, v[3:4]
	v_add_co_u32 v5, s1, s8, v3
	v_add_co_ci_u32_e64 v4, s1, s9, v4, s1
	v_lshlrev_b64 v[2:3], 4, v[102:103]
	v_add_co_u32 v0, s1, v5, v0
	v_add_co_ci_u32_e64 v1, s1, v4, v1, s1
	v_add_co_u32 v0, s1, v0, v2
	v_add_co_ci_u32_e64 v1, s1, v1, v3, s1
	s_clause 0x1
	global_load_dwordx4 v[2:5], v[0:1], off
	global_load_dwordx4 v[64:67], v[0:1], off offset:1440
	v_add_co_u32 v6, s1, 0x800, v0
	v_add_co_ci_u32_e64 v7, s1, 0, v1, s1
	v_add_co_u32 v8, s1, 0x1000, v0
	v_add_co_ci_u32_e64 v9, s1, 0, v1, s1
	v_add_co_u32 v10, s1, 0x1800, v0
	v_add_co_ci_u32_e64 v11, s1, 0, v1, s1
	v_add_co_u32 v12, s1, 0x2000, v0
	v_add_co_ci_u32_e64 v13, s1, 0, v1, s1
	v_add_co_u32 v14, s1, 0x2800, v0
	v_add_co_ci_u32_e64 v15, s1, 0, v1, s1
	v_add_co_u32 v16, s1, 0x3000, v0
	v_add_co_ci_u32_e64 v17, s1, 0, v1, s1
	v_add_co_u32 v18, s1, 0x3800, v0
	v_add_co_ci_u32_e64 v19, s1, 0, v1, s1
	s_clause 0x7
	global_load_dwordx4 v[68:71], v[6:7], off offset:832
	global_load_dwordx4 v[60:63], v[8:9], off offset:224
	;; [unrolled: 1-line block ×8, first 2 shown]
	v_add_co_u32 v6, s1, 0x4000, v0
	v_add_co_ci_u32_e64 v7, s1, 0, v1, s1
	v_add_co_u32 v8, s1, 0x4800, v0
	v_add_co_ci_u32_e64 v9, s1, 0, v1, s1
	;; [unrolled: 2-line block ×4, first 2 shown]
	s_clause 0x6
	global_load_dwordx4 v[44:47], v[18:19], off offset:64
	global_load_dwordx4 v[36:39], v[18:19], off offset:1504
	;; [unrolled: 1-line block ×7, first 2 shown]
.LBB0_11:
	s_or_b32 exec_lo, exec_lo, s6
	s_waitcnt vmcnt(0)
	v_add_f64 v[140:141], v[66:67], -v[10:11]
	s_mov_b32 s24, 0x5d8e7cdc
	s_mov_b32 s30, 0x2a9d6da3
	;; [unrolled: 1-line block ×4, first 2 shown]
	v_add_f64 v[72:73], v[8:9], v[64:65]
	v_add_f64 v[134:135], v[70:71], -v[14:15]
	s_mov_b32 s4, 0x370991
	s_mov_b32 s6, 0x75d4884
	;; [unrolled: 1-line block ×6, first 2 shown]
	v_add_f64 v[82:83], v[12:13], v[68:69]
	v_add_f64 v[138:139], v[62:63], -v[18:19]
	s_mov_b32 s8, 0x3259b75e
	s_mov_b32 s36, 0x7c9e640b
	;; [unrolled: 1-line block ×6, first 2 shown]
	v_add_f64 v[86:87], v[16:17], v[60:61]
	v_mul_f64 v[78:79], v[140:141], s[24:25]
	v_mul_f64 v[88:89], v[140:141], s[30:31]
	v_add_f64 v[132:133], v[58:59], -v[22:23]
	s_mov_b32 s14, 0x2b2883cd
	s_mov_b32 s16, 0x6ed5f1bb
	;; [unrolled: 1-line block ×3, first 2 shown]
	v_mul_f64 v[84:85], v[134:135], s[30:31]
	v_mul_f64 v[94:95], v[134:135], s[34:35]
	s_mov_b32 s15, 0x3fdc86fa
	s_mov_b32 s17, 0xbfe348c8
	;; [unrolled: 1-line block ×3, first 2 shown]
	v_add_f64 v[90:91], v[20:21], v[56:57]
	v_add_f64 v[128:129], v[54:55], -v[30:31]
	s_mov_b32 s18, 0x7faef3
	v_mul_f64 v[92:93], v[138:139], s[36:37]
	v_mul_f64 v[108:109], v[138:139], s[26:27]
	s_mov_b32 s38, 0x923c349f
	s_mov_b32 s40, 0x4363dd80
	;; [unrolled: 1-line block ×5, first 2 shown]
	v_add_f64 v[106:107], v[28:29], v[52:53]
	v_fma_f64 v[0:1], v[72:73], s[4:5], -v[78:79]
	v_fma_f64 v[6:7], v[72:73], s[6:7], -v[88:89]
	v_mul_f64 v[98:99], v[132:133], s[34:35]
	v_mul_f64 v[114:115], v[132:133], s[28:29]
	v_add_f64 v[130:131], v[50:51], -v[38:39]
	s_mov_b32 s20, 0xc61f0d01
	v_fma_f64 v[74:75], v[82:83], s[6:7], -v[84:85]
	v_fma_f64 v[76:77], v[82:83], s[8:9], -v[94:95]
	s_mov_b32 s22, 0x910ea3b9
	s_mov_b32 s21, 0xbfd183b1
	;; [unrolled: 1-line block ×4, first 2 shown]
	v_mul_f64 v[110:111], v[128:129], s[38:39]
	v_mul_f64 v[120:121], v[128:129], s[40:41]
	v_fma_f64 v[80:81], v[86:87], s[14:15], -v[92:93]
	v_fma_f64 v[96:97], v[86:87], s[16:17], -v[108:109]
	s_mov_b32 s42, s38
	v_add_f64 v[112:113], v[36:37], v[48:49]
	v_add_f64 v[136:137], v[42:43], -v[46:47]
	s_mov_b32 s45, 0xbfe0d888
	s_mov_b32 s47, 0x3feca52d
	;; [unrolled: 1-line block ×3, first 2 shown]
	v_add_f64 v[0:1], v[2:3], v[0:1]
	v_add_f64 v[6:7], v[2:3], v[6:7]
	s_mov_b32 s46, s36
	v_add_f64 v[118:119], v[44:45], v[40:41]
	v_mul_f64 v[116:117], v[130:131], s[26:27]
	v_mul_f64 v[124:125], v[130:131], s[42:43]
	s_mov_b32 s49, 0x3fd71e95
	s_mov_b32 s48, s24
	v_mul_f64 v[122:123], v[136:137], s[44:45]
	v_mul_f64 v[126:127], v[136:137], s[46:47]
	v_add_f64 v[0:1], v[74:75], v[0:1]
	v_add_f64 v[6:7], v[76:77], v[6:7]
	v_fma_f64 v[74:75], v[90:91], s[8:9], -v[98:99]
	v_fma_f64 v[76:77], v[90:91], s[18:19], -v[114:115]
	;; [unrolled: 1-line block ×6, first 2 shown]
	v_add_f64 v[0:1], v[80:81], v[0:1]
	v_add_f64 v[6:7], v[96:97], v[6:7]
	v_fma_f64 v[80:81], v[106:107], s[20:21], -v[110:111]
	v_fma_f64 v[96:97], v[106:107], s[22:23], -v[120:121]
	v_add_f64 v[0:1], v[74:75], v[0:1]
	v_add_f64 v[6:7], v[76:77], v[6:7]
	v_add_f64 v[74:75], v[34:35], -v[26:27]
	v_add_f64 v[0:1], v[80:81], v[0:1]
	v_add_f64 v[6:7], v[96:97], v[6:7]
	;; [unrolled: 1-line block ×3, first 2 shown]
	v_mul_f64 v[76:77], v[74:75], s[28:29]
	v_mul_f64 v[80:81], v[74:75], s[48:49]
	v_add_f64 v[0:1], v[142:143], v[0:1]
	v_add_f64 v[6:7], v[144:145], v[6:7]
	v_fma_f64 v[142:143], v[96:97], s[18:19], -v[76:77]
	v_fma_f64 v[144:145], v[96:97], s[4:5], -v[80:81]
	v_add_f64 v[0:1], v[146:147], v[0:1]
	v_add_f64 v[6:7], v[148:149], v[6:7]
	v_add_f64 v[0:1], v[142:143], v[0:1]
	v_add_f64 v[6:7], v[144:145], v[6:7]
	s_and_saveexec_b32 s1, s0
	s_cbranch_execz .LBB0_13
; %bb.12:
	v_mul_f64 v[142:143], v[72:73], s[18:19]
	v_mul_f64 v[144:145], v[72:73], s[22:23]
	;; [unrolled: 1-line block ×3, first 2 shown]
	s_mov_b32 s53, 0x3fc7851a
	s_mov_b32 s52, s28
	;; [unrolled: 1-line block ×4, first 2 shown]
	v_mul_f64 v[148:149], v[82:83], s[4:5]
	v_mul_f64 v[152:153], v[72:73], s[20:21]
	;; [unrolled: 1-line block ×6, first 2 shown]
	s_mov_b32 s55, 0x3fefdd0d
	s_mov_b32 s54, s34
	v_mul_f64 v[166:167], v[82:83], s[22:23]
	v_mul_f64 v[170:171], v[82:83], s[18:19]
	s_mov_b32 s57, 0x3fe58eea
	s_mov_b32 s56, s30
	v_mul_f64 v[180:181], v[112:113], s[4:5]
	v_mul_f64 v[186:187], v[118:119], s[6:7]
	;; [unrolled: 1-line block ×3, first 2 shown]
	v_fma_f64 v[150:151], v[140:141], s[52:53], v[142:143]
	v_fma_f64 v[142:143], v[140:141], s[28:29], v[142:143]
	;; [unrolled: 1-line block ×6, first 2 shown]
	v_mul_f64 v[194:195], v[118:119], s[4:5]
	v_fma_f64 v[168:169], v[134:135], s[24:25], v[148:149]
	v_fma_f64 v[148:149], v[134:135], s[48:49], v[148:149]
	;; [unrolled: 1-line block ×13, first 2 shown]
	v_mul_f64 v[198:199], v[118:119], s[16:17]
	v_mul_f64 v[202:203], v[118:119], s[8:9]
	v_add_f64 v[150:151], v[2:3], v[150:151]
	v_add_f64 v[142:143], v[2:3], v[142:143]
	;; [unrolled: 1-line block ×6, first 2 shown]
	v_fma_f64 v[188:189], v[136:137], s[30:31], v[186:187]
	v_fma_f64 v[186:187], v[136:137], s[56:57], v[186:187]
	;; [unrolled: 1-line block ×3, first 2 shown]
	v_add_f64 v[172:173], v[2:3], v[172:173]
	v_fma_f64 v[190:191], v[136:137], s[28:29], v[190:191]
	v_add_f64 v[152:153], v[2:3], v[152:153]
	v_fma_f64 v[196:197], v[136:137], s[48:49], v[194:195]
	v_add_f64 v[176:177], v[2:3], v[176:177]
	v_add_f64 v[158:159], v[2:3], v[158:159]
	;; [unrolled: 1-line block ×4, first 2 shown]
	v_fma_f64 v[194:195], v[136:137], s[24:25], v[194:195]
	v_fma_f64 v[200:201], v[136:137], s[26:27], v[198:199]
	;; [unrolled: 1-line block ×3, first 2 shown]
	v_add_f64 v[150:151], v[168:169], v[150:151]
	v_mul_f64 v[168:169], v[86:87], s[22:23]
	v_add_f64 v[142:143], v[148:149], v[142:143]
	v_fma_f64 v[148:149], v[134:135], s[44:45], v[166:167]
	v_fma_f64 v[166:167], v[134:135], s[40:41], v[166:167]
	v_add_f64 v[156:157], v[174:175], v[156:157]
	v_mul_f64 v[174:175], v[86:87], s[8:9]
	v_add_f64 v[144:145], v[154:155], v[144:145]
	v_fma_f64 v[154:155], v[134:135], s[52:53], v[170:171]
	v_fma_f64 v[170:171], v[134:135], s[28:29], v[170:171]
	;; [unrolled: 5-line block ×3, first 2 shown]
	v_fma_f64 v[168:169], v[138:139], s[44:45], v[168:169]
	v_add_f64 v[148:149], v[148:149], v[172:173]
	v_mul_f64 v[172:173], v[86:87], s[6:7]
	v_add_f64 v[152:153], v[166:167], v[152:153]
	v_fma_f64 v[166:167], v[138:139], s[54:55], v[174:175]
	v_fma_f64 v[174:175], v[138:139], s[34:35], v[174:175]
	v_add_f64 v[154:155], v[154:155], v[176:177]
	v_mul_f64 v[176:177], v[86:87], s[20:21]
	v_add_f64 v[158:159], v[170:171], v[158:159]
	v_fma_f64 v[170:171], v[138:139], s[48:49], v[164:165]
	;; [unrolled: 5-line block ×7, first 2 shown]
	v_fma_f64 v[170:171], v[132:133], s[44:45], v[170:171]
	v_add_f64 v[150:151], v[164:165], v[150:151]
	v_add_f64 v[142:143], v[162:163], v[142:143]
	v_mul_f64 v[162:163], v[90:91], s[4:5]
	v_fma_f64 v[164:165], v[132:133], s[46:47], v[168:169]
	v_fma_f64 v[168:169], v[132:133], s[36:37], v[168:169]
	v_add_f64 v[156:157], v[172:173], v[156:157]
	v_add_f64 v[144:145], v[166:167], v[144:145]
	v_mul_f64 v[166:167], v[86:87], s[18:19]
	v_fma_f64 v[172:173], v[134:135], s[50:51], v[174:175]
	v_fma_f64 v[134:135], v[134:135], s[26:27], v[174:175]
	v_add_f64 v[160:161], v[176:177], v[160:161]
	v_mul_f64 v[176:177], v[106:107], s[16:17]
	v_add_f64 v[146:147], v[170:171], v[146:147]
	v_mul_f64 v[170:171], v[106:107], s[8:9]
	v_mul_f64 v[174:175], v[106:107], s[18:19]
	v_add_f64 v[148:149], v[164:165], v[148:149]
	v_add_f64 v[152:153], v[168:169], v[152:153]
	v_fma_f64 v[164:165], v[132:133], s[24:25], v[162:163]
	v_fma_f64 v[162:163], v[132:133], s[48:49], v[162:163]
	v_mul_f64 v[168:169], v[106:107], s[4:5]
	v_add_f64 v[172:173], v[172:173], v[178:179]
	v_fma_f64 v[178:179], v[138:139], s[28:29], v[166:167]
	v_fma_f64 v[138:139], v[138:139], s[52:53], v[166:167]
	;; [unrolled: 1-line block ×4, first 2 shown]
	v_add_f64 v[134:135], v[134:135], v[140:141]
	v_mul_f64 v[140:141], v[90:91], s[20:21]
	v_add_f64 v[154:155], v[164:165], v[154:155]
	v_add_f64 v[158:159], v[162:163], v[158:159]
	v_fma_f64 v[164:165], v[128:129], s[48:49], v[168:169]
	v_fma_f64 v[168:169], v[128:129], s[24:25], v[168:169]
	;; [unrolled: 1-line block ×4, first 2 shown]
	v_add_f64 v[150:151], v[166:167], v[150:151]
	v_mul_f64 v[166:167], v[106:107], s[14:15]
	v_add_f64 v[142:143], v[176:177], v[142:143]
	v_fma_f64 v[176:177], v[128:129], s[52:53], v[174:175]
	v_add_f64 v[172:173], v[178:179], v[172:173]
	v_mul_f64 v[178:179], v[106:107], s[6:7]
	v_add_f64 v[134:135], v[138:139], v[134:135]
	v_mul_f64 v[138:139], v[112:113], s[22:23]
	v_add_f64 v[156:157], v[164:165], v[156:157]
	v_add_f64 v[144:145], v[168:169], v[144:145]
	;; [unrolled: 1-line block ×3, first 2 shown]
	v_fma_f64 v[162:163], v[128:129], s[28:29], v[174:175]
	v_mul_f64 v[168:169], v[112:113], s[14:15]
	v_fma_f64 v[164:165], v[128:129], s[46:47], v[166:167]
	v_add_f64 v[146:147], v[170:171], v[146:147]
	v_mul_f64 v[170:171], v[112:113], s[18:19]
	v_add_f64 v[148:149], v[176:177], v[148:149]
	v_fma_f64 v[166:167], v[128:129], s[36:37], v[166:167]
	v_mul_f64 v[174:175], v[112:113], s[6:7]
	v_fma_f64 v[176:177], v[132:133], s[38:39], v[140:141]
	v_fma_f64 v[132:133], v[132:133], s[42:43], v[140:141]
	v_mul_f64 v[140:141], v[112:113], s[8:9]
	v_add_f64 v[152:153], v[162:163], v[152:153]
	v_fma_f64 v[162:163], v[130:131], s[36:37], v[168:169]
	v_add_f64 v[154:155], v[164:165], v[154:155]
	v_fma_f64 v[164:165], v[130:131], s[46:47], v[168:169]
	v_fma_f64 v[168:169], v[130:131], s[52:53], v[170:171]
	;; [unrolled: 1-line block ×3, first 2 shown]
	v_add_f64 v[158:159], v[166:167], v[158:159]
	v_fma_f64 v[166:167], v[130:131], s[56:57], v[174:175]
	v_fma_f64 v[174:175], v[130:131], s[30:31], v[174:175]
	v_add_f64 v[172:173], v[176:177], v[172:173]
	v_fma_f64 v[176:177], v[128:129], s[30:31], v[178:179]
	v_fma_f64 v[128:129], v[128:129], s[56:57], v[178:179]
	;; [unrolled: 1-line block ×4, first 2 shown]
	v_add_f64 v[132:133], v[132:133], v[134:135]
	v_fma_f64 v[134:135], v[130:131], s[40:41], v[138:139]
	v_fma_f64 v[138:139], v[130:131], s[44:45], v[138:139]
	;; [unrolled: 1-line block ×3, first 2 shown]
	v_mul_f64 v[180:181], v[118:119], s[20:21]
	v_add_f64 v[134:135], v[134:135], v[154:155]
	v_fma_f64 v[184:185], v[136:137], s[42:43], v[180:181]
	v_fma_f64 v[180:181], v[136:137], s[38:39], v[180:181]
	v_fma_f64 v[136:137], v[136:137], s[34:35], v[202:203]
	v_mul_f64 v[202:203], v[86:87], s[16:17]
	v_mul_f64 v[86:87], v[86:87], s[14:15]
	v_add_f64 v[108:109], v[108:109], v[202:203]
	v_mul_f64 v[202:203], v[72:73], s[6:7]
	v_mul_f64 v[72:73], v[72:73], s[4:5]
	v_add_f64 v[86:87], v[92:93], v[86:87]
	v_add_f64 v[92:93], v[128:129], v[132:133]
	;; [unrolled: 1-line block ×5, first 2 shown]
	v_mul_f64 v[202:203], v[82:83], s[8:9]
	v_mul_f64 v[78:79], v[82:83], s[6:7]
	;; [unrolled: 1-line block ×3, first 2 shown]
	v_add_f64 v[92:93], v[130:131], v[92:93]
	v_add_f64 v[88:89], v[2:3], v[88:89]
	;; [unrolled: 1-line block ×7, first 2 shown]
	v_mul_f64 v[84:85], v[118:119], s[22:23]
	v_mul_f64 v[110:111], v[96:97], s[6:7]
	v_add_f64 v[92:93], v[136:137], v[92:93]
	v_add_f64 v[2:3], v[68:69], v[2:3]
	;; [unrolled: 1-line block ×3, first 2 shown]
	v_mul_f64 v[94:95], v[90:91], s[18:19]
	v_add_f64 v[72:73], v[78:79], v[72:73]
	v_mul_f64 v[78:79], v[90:91], s[8:9]
	v_mul_f64 v[90:91], v[96:97], s[8:9]
	v_add_f64 v[84:85], v[122:123], v[84:85]
	v_add_f64 v[122:123], v[170:171], v[144:145]
	;; [unrolled: 1-line block ×5, first 2 shown]
	v_mul_f64 v[108:109], v[106:107], s[22:23]
	v_add_f64 v[78:79], v[98:99], v[78:79]
	v_add_f64 v[72:73], v[86:87], v[72:73]
	v_mul_f64 v[114:115], v[118:119], s[14:15]
	v_add_f64 v[86:87], v[176:177], v[172:173]
	v_mul_f64 v[98:99], v[96:97], s[20:21]
	v_mul_f64 v[106:107], v[96:97], s[14:15]
	v_add_f64 v[118:119], v[168:169], v[156:157]
	v_add_f64 v[2:3], v[56:57], v[2:3]
	;; [unrolled: 1-line block ×4, first 2 shown]
	v_mul_f64 v[94:95], v[112:113], s[20:21]
	v_add_f64 v[72:73], v[78:79], v[72:73]
	v_mul_f64 v[78:79], v[112:113], s[16:17]
	v_add_f64 v[114:115], v[126:127], v[114:115]
	;; [unrolled: 2-line block ×3, first 2 shown]
	v_add_f64 v[126:127], v[166:167], v[160:161]
	v_add_f64 v[142:143], v[178:179], v[148:149]
	;; [unrolled: 1-line block ×3, first 2 shown]
	v_fma_f64 v[128:129], v[74:75], s[42:43], v[98:99]
	v_fma_f64 v[98:99], v[74:75], s[38:39], v[98:99]
	;; [unrolled: 1-line block ×4, first 2 shown]
	v_add_f64 v[2:3], v[52:53], v[2:3]
	v_add_f64 v[88:89], v[108:109], v[88:89]
	;; [unrolled: 1-line block ×5, first 2 shown]
	v_mul_f64 v[82:83], v[96:97], s[16:17]
	v_mul_f64 v[116:117], v[96:97], s[22:23]
	v_add_f64 v[108:109], v[162:163], v[150:151]
	v_mul_f64 v[96:97], v[96:97], s[18:19]
	v_fma_f64 v[124:125], v[74:75], s[34:35], v[90:91]
	v_fma_f64 v[90:91], v[74:75], s[54:55], v[90:91]
	v_add_f64 v[80:81], v[80:81], v[120:121]
	v_add_f64 v[120:121], v[194:195], v[132:133]
	;; [unrolled: 1-line block ×8, first 2 shown]
	v_fma_f64 v[130:131], v[74:75], s[50:51], v[82:83]
	v_fma_f64 v[78:79], v[74:75], s[26:27], v[82:83]
	;; [unrolled: 1-line block ×6, first 2 shown]
	v_add_f64 v[116:117], v[186:187], v[122:123]
	v_add_f64 v[76:77], v[76:77], v[96:97]
	;; [unrolled: 1-line block ×28, first 2 shown]
	v_mad_u32_u24 v76, 0x88, v102, 0
	v_add_f64 v[2:3], v[24:25], v[2:3]
	v_add_f64 v[2:3], v[44:45], v[2:3]
	;; [unrolled: 1-line block ×8, first 2 shown]
	ds_write2_b64 v76, v[80:81], v[74:75] offset0:2 offset1:3
	ds_write2_b64 v76, v[88:89], v[78:79] offset0:4 offset1:5
	;; [unrolled: 1-line block ×7, first 2 shown]
	ds_write2_b64 v76, v[2:3], v[72:73] offset1:1
	ds_write_b64 v76, v[0:1] offset:128
.LBB0_13:
	s_or_b32 exec_lo, exec_lo, s1
	v_add_f64 v[142:143], v[64:65], -v[8:9]
	v_add_f64 v[114:115], v[68:69], -v[12:13]
	v_add_f64 v[68:69], v[10:11], v[66:67]
	v_add_f64 v[120:121], v[60:61], -v[16:17]
	v_add_f64 v[64:65], v[14:15], v[70:71]
	v_add_f64 v[60:61], v[18:19], v[62:63]
	v_add_f64 v[122:123], v[56:57], -v[20:21]
	v_add_f64 v[56:57], v[22:23], v[58:59]
	v_add_f64 v[128:129], v[52:53], -v[28:29]
	;; [unrolled: 2-line block ×4, first 2 shown]
	v_add_f64 v[36:37], v[46:47], v[42:43]
	v_lshl_add_u32 v103, v102, 3, 0
	s_waitcnt lgkmcnt(0)
	s_barrier
	buffer_gl0_inv
	v_add_nc_u32_e32 v147, 0x800, v103
	v_add_nc_u32_e32 v144, 0x1c00, v103
	;; [unrolled: 1-line block ×3, first 2 shown]
	v_mul_f64 v[106:107], v[142:143], s[24:25]
	v_mul_f64 v[108:109], v[142:143], s[30:31]
	;; [unrolled: 1-line block ×14, first 2 shown]
	v_add_nc_u32_e32 v148, 0x1000, v103
	v_add_nc_u32_e32 v149, 0x1800, v103
	;; [unrolled: 1-line block ×3, first 2 shown]
	v_fma_f64 v[2:3], v[68:69], s[4:5], v[106:107]
	v_fma_f64 v[8:9], v[68:69], s[6:7], v[108:109]
	;; [unrolled: 1-line block ×8, first 2 shown]
	v_add_f64 v[2:3], v[4:5], v[2:3]
	v_add_f64 v[8:9], v[4:5], v[8:9]
	;; [unrolled: 1-line block ×4, first 2 shown]
	v_fma_f64 v[12:13], v[56:57], s[8:9], v[124:125]
	v_fma_f64 v[16:17], v[56:57], s[18:19], v[126:127]
	v_add_f64 v[2:3], v[20:21], v[2:3]
	v_add_f64 v[8:9], v[28:29], v[8:9]
	v_fma_f64 v[20:21], v[52:53], s[20:21], v[130:131]
	v_add_f64 v[28:29], v[32:33], -v[24:25]
	v_fma_f64 v[32:33], v[48:49], s[20:21], v[44:45]
	v_add_f64 v[2:3], v[12:13], v[2:3]
	v_add_f64 v[8:9], v[16:17], v[8:9]
	v_fma_f64 v[16:17], v[48:49], s[16:17], v[40:41]
	v_add_f64 v[12:13], v[26:27], v[34:35]
	v_mul_f64 v[24:25], v[28:29], s[48:49]
	v_add_f64 v[2:3], v[20:21], v[2:3]
	v_add_f64 v[8:9], v[72:73], v[8:9]
	v_mul_f64 v[20:21], v[28:29], s[28:29]
	v_fma_f64 v[72:73], v[36:37], s[22:23], v[138:139]
	v_add_f64 v[2:3], v[16:17], v[2:3]
	v_add_f64 v[8:9], v[32:33], v[8:9]
	v_fma_f64 v[16:17], v[12:13], s[18:19], v[20:21]
	v_fma_f64 v[32:33], v[12:13], s[4:5], v[24:25]
	v_add_f64 v[2:3], v[72:73], v[2:3]
	v_add_f64 v[92:93], v[74:75], v[8:9]
	ds_read2_b64 v[72:75], v103 offset1:102
	ds_read2_b64 v[76:79], v147 offset0:152 offset1:254
	ds_read2_b64 v[88:91], v144 offset0:124 offset1:226
	;; [unrolled: 1-line block ×4, first 2 shown]
	v_add_f64 v[8:9], v[16:17], v[2:3]
	v_add_f64 v[16:17], v[32:33], v[92:93]
	ds_read2_b64 v[96:99], v145 offset0:72 offset1:174
	ds_read2_b64 v[92:95], v149 offset0:48 offset1:150
	ds_read_b64 v[2:3], v103 offset:11424
	s_waitcnt lgkmcnt(0)
	s_barrier
	buffer_gl0_inv
	s_and_saveexec_b32 s33, s0
	s_cbranch_execz .LBB0_15
; %bb.14:
	v_add_f64 v[66:67], v[66:67], v[4:5]
	v_mul_f64 v[164:165], v[56:57], s[18:19]
	v_mul_f64 v[166:167], v[52:53], s[20:21]
	;; [unrolled: 1-line block ×6, first 2 shown]
	s_mov_b32 s40, 0x7c9e640b
	s_mov_b32 s38, 0xeb564b22
	;; [unrolled: 1-line block ×12, first 2 shown]
	v_mul_f64 v[150:151], v[68:69], s[4:5]
	v_mul_f64 v[152:153], v[68:69], s[6:7]
	v_mul_f64 v[154:155], v[64:65], s[6:7]
	v_add_f64 v[66:67], v[70:71], v[66:67]
	v_mul_f64 v[156:157], v[64:65], s[8:9]
	v_mul_f64 v[158:159], v[60:61], s[14:15]
	;; [unrolled: 1-line block ×10, first 2 shown]
	s_mov_b32 s0, 0x2b2883cd
	s_mov_b32 s6, 0x3259b75e
	s_mov_b32 s8, 0xc61f0d01
	s_mov_b32 s14, 0x6ed5f1bb
	s_mov_b32 s16, 0x910ea3b9
	s_mov_b32 s30, 0x7faef3
	s_mov_b32 s52, 0x5d8e7cdc
	s_mov_b32 s1, 0x3fdc86fa
	s_mov_b32 s7, 0x3fb79ee6
	s_mov_b32 s9, 0xbfd183b1
	s_mov_b32 s15, 0xbfe348c8
	v_add_f64 v[62:63], v[62:63], v[66:67]
	v_mul_f64 v[66:67], v[142:143], s[40:41]
	v_mul_f64 v[142:143], v[142:143], s[42:43]
	s_mov_b32 s17, 0xbfeb34fa
	s_mov_b32 s31, 0xbfef7484
	;; [unrolled: 1-line block ×9, first 2 shown]
	v_mul_f64 v[184:185], v[114:115], s[20:21]
	v_mul_f64 v[186:187], v[114:115], s[42:43]
	v_mul_f64 v[220:221], v[114:115], s[44:45]
	v_mul_f64 v[222:223], v[114:115], s[46:47]
	s_mov_b32 s34, 0x370991
	s_mov_b32 s28, 0x2a9d6da3
	;; [unrolled: 1-line block ×6, first 2 shown]
	v_add_f64 v[58:59], v[58:59], v[62:63]
	v_mul_f64 v[62:63], v[114:115], s[52:53]
	v_mul_f64 v[114:115], v[114:115], s[24:25]
	s_mov_b32 s48, s42
	s_mov_b32 s50, s52
	v_mul_f64 v[188:189], v[120:121], s[28:29]
	v_mul_f64 v[190:191], v[120:121], s[38:39]
	;; [unrolled: 1-line block ×6, first 2 shown]
	v_add_f64 v[40:41], v[170:171], -v[40:41]
	s_mov_b32 s26, 0x75d4884
	s_mov_b32 s27, 0x3fe7a5f6
	v_fma_f64 v[248:249], v[64:65], s[16:17], -v[220:221]
	v_fma_f64 v[220:221], v[64:65], s[16:17], v[220:221]
	v_fma_f64 v[250:251], v[64:65], s[8:9], -v[222:223]
	v_fma_f64 v[222:223], v[64:65], s[8:9], v[222:223]
	s_mov_b32 s55, 0x3fe9895b
	s_mov_b32 s54, s20
	v_mul_f64 v[194:195], v[122:123], s[52:53]
	v_mul_f64 v[196:197], v[122:123], s[40:41]
	v_add_f64 v[54:55], v[54:55], v[58:59]
	v_fma_f64 v[170:171], v[64:65], s[34:35], -v[62:63]
	v_fma_f64 v[62:63], v[64:65], s[34:35], v[62:63]
	v_mul_f64 v[198:199], v[122:123], s[22:23]
	v_mul_f64 v[200:201], v[122:123], s[28:29]
	;; [unrolled: 1-line block ×4, first 2 shown]
	v_add_f64 v[44:45], v[172:173], -v[44:45]
	v_fma_f64 v[172:173], v[60:61], s[26:27], -v[188:189]
	s_mov_b32 s37, 0x3fefdd0d
	s_mov_b32 s36, s38
	v_mul_f64 v[202:203], v[128:129], s[28:29]
	v_mul_f64 v[204:205], v[128:129], s[40:41]
	;; [unrolled: 1-line block ×6, first 2 shown]
	s_mov_b32 s57, 0xbfe58eea
	s_mov_b32 s56, s28
	v_mul_f64 v[210:211], v[134:135], s[22:23]
	v_mul_f64 v[58:59], v[134:135], s[42:43]
	;; [unrolled: 1-line block ×3, first 2 shown]
	v_add_f64 v[50:51], v[50:51], v[54:55]
	v_add_f64 v[54:55], v[150:151], -v[106:107]
	v_add_f64 v[106:107], v[152:153], -v[108:109]
	;; [unrolled: 1-line block ×12, first 2 shown]
	v_fma_f64 v[140:141], v[68:69], s[0:1], -v[66:67]
	v_fma_f64 v[66:67], v[68:69], s[0:1], v[66:67]
	v_fma_f64 v[150:151], v[68:69], s[6:7], -v[70:71]
	v_fma_f64 v[70:71], v[68:69], s[6:7], v[70:71]
	;; [unrolled: 2-line block ×3, first 2 shown]
	v_fma_f64 v[156:157], v[68:69], s[14:15], -v[180:181]
	v_fma_f64 v[158:159], v[68:69], s[16:17], -v[182:183]
	v_fma_f64 v[160:161], v[68:69], s[16:17], v[182:183]
	v_add_f64 v[42:43], v[42:43], v[50:51]
	v_fma_f64 v[50:51], v[68:69], s[14:15], v[180:181]
	v_fma_f64 v[162:163], v[68:69], s[30:31], -v[142:143]
	v_fma_f64 v[68:69], v[68:69], s[30:31], v[142:143]
	v_add_f64 v[54:55], v[4:5], v[54:55]
	v_fma_f64 v[142:143], v[64:65], s[14:15], -v[184:185]
	v_fma_f64 v[164:165], v[64:65], s[14:15], v[184:185]
	v_fma_f64 v[166:167], v[64:65], s[30:31], -v[186:187]
	v_fma_f64 v[168:169], v[64:65], s[30:31], v[186:187]
	v_add_f64 v[106:107], v[4:5], v[106:107]
	v_fma_f64 v[174:175], v[60:61], s[26:27], v[188:189]
	v_fma_f64 v[176:177], v[60:61], s[6:7], -v[190:191]
	v_fma_f64 v[178:179], v[60:61], s[6:7], v[190:191]
	v_fma_f64 v[180:181], v[60:61], s[16:17], -v[192:193]
	v_add_f64 v[66:67], v[4:5], v[66:67]
	v_fma_f64 v[182:183], v[60:61], s[16:17], v[192:193]
	v_add_f64 v[70:71], v[4:5], v[70:71]
	v_fma_f64 v[184:185], v[56:57], s[34:35], -v[194:195]
	v_fma_f64 v[186:187], v[56:57], s[34:35], v[194:195]
	v_fma_f64 v[188:189], v[56:57], s[0:1], -v[196:197]
	v_fma_f64 v[190:191], v[56:57], s[0:1], v[196:197]
	v_fma_f64 v[192:193], v[56:57], s[16:17], v[198:199]
	v_add_f64 v[34:35], v[34:35], v[42:43]
	v_add_f64 v[50:51], v[4:5], v[50:51]
	v_fma_f64 v[42:43], v[56:57], s[16:17], -v[198:199]
	v_fma_f64 v[194:195], v[56:57], s[26:27], -v[200:201]
	v_add_f64 v[54:55], v[108:109], v[54:55]
	v_fma_f64 v[196:197], v[56:57], s[26:27], v[200:201]
	v_mul_f64 v[234:235], v[134:135], s[36:37]
	v_mul_f64 v[236:237], v[134:135], s[56:57]
	v_mul_f64 v[134:135], v[134:135], s[24:25]
	v_add_f64 v[106:107], v[110:111], v[106:107]
	v_fma_f64 v[198:199], v[52:53], s[26:27], -v[202:203]
	v_fma_f64 v[242:243], v[52:53], s[14:15], -v[208:209]
	v_fma_f64 v[208:209], v[52:53], s[14:15], v[208:209]
	v_fma_f64 v[200:201], v[52:53], s[26:27], v[202:203]
	v_add_f64 v[66:67], v[164:165], v[66:67]
	v_fma_f64 v[202:203], v[52:53], s[0:1], -v[204:205]
	v_add_f64 v[70:71], v[168:169], v[70:71]
	v_fma_f64 v[240:241], v[52:53], s[30:31], -v[206:207]
	v_fma_f64 v[204:205], v[52:53], s[0:1], v[204:205]
	v_fma_f64 v[206:207], v[52:53], s[30:31], v[206:207]
	v_mul_f64 v[212:213], v[136:137], s[38:39]
	v_fma_f64 v[244:245], v[48:49], s[16:17], -v[210:211]
	v_add_f64 v[26:27], v[26:27], v[34:35]
	v_fma_f64 v[34:35], v[64:65], s[0:1], -v[114:115]
	v_fma_f64 v[64:65], v[64:65], s[0:1], v[114:115]
	v_add_f64 v[114:115], v[4:5], v[140:141]
	v_add_f64 v[140:141], v[4:5], v[150:151]
	;; [unrolled: 1-line block ×9, first 2 shown]
	v_fma_f64 v[68:69], v[60:61], s[30:31], -v[224:225]
	v_fma_f64 v[162:163], v[60:61], s[30:31], v[224:225]
	v_fma_f64 v[224:225], v[60:61], s[8:9], -v[226:227]
	v_fma_f64 v[226:227], v[60:61], s[8:9], v[226:227]
	v_add_f64 v[50:51], v[222:223], v[50:51]
	v_add_f64 v[54:55], v[112:113], v[54:55]
	v_add_f64 v[106:107], v[116:117], v[106:107]
	v_fma_f64 v[210:211], v[48:49], s[16:17], v[210:211]
	v_fma_f64 v[246:247], v[48:49], s[30:31], -v[58:59]
	v_fma_f64 v[58:59], v[48:49], s[30:31], v[58:59]
	v_add_f64 v[26:27], v[46:47], v[26:27]
	v_fma_f64 v[46:47], v[60:61], s[34:35], -v[120:121]
	v_fma_f64 v[60:61], v[60:61], s[34:35], v[120:121]
	v_add_f64 v[108:109], v[142:143], v[114:115]
	v_add_f64 v[110:111], v[166:167], v[140:141]
	v_add_f64 v[114:115], v[248:249], v[150:151]
	v_add_f64 v[120:121], v[220:221], v[152:153]
	v_add_f64 v[140:141], v[250:251], v[154:155]
	v_add_f64 v[34:35], v[34:35], v[156:157]
	v_add_f64 v[64:65], v[64:65], v[158:159]
	v_add_f64 v[142:143], v[170:171], v[160:161]
	v_add_f64 v[4:5], v[62:63], v[4:5]
	v_fma_f64 v[154:155], v[56:57], s[8:9], -v[228:229]
	v_fma_f64 v[156:157], v[56:57], s[8:9], v[228:229]
	v_add_f64 v[66:67], v[162:163], v[66:67]
	v_add_f64 v[70:71], v[226:227], v[70:71]
	v_mul_f64 v[214:215], v[136:137], s[42:43]
	v_add_f64 v[54:55], v[118:119], v[54:55]
	v_add_f64 v[106:107], v[124:125], v[106:107]
	v_fma_f64 v[118:119], v[48:49], s[26:27], -v[236:237]
	v_fma_f64 v[124:125], v[48:49], s[26:27], v[236:237]
	v_mul_f64 v[216:217], v[136:137], s[28:29]
	v_add_f64 v[26:27], v[38:39], v[26:27]
	v_fma_f64 v[38:39], v[56:57], s[14:15], -v[122:123]
	v_fma_f64 v[56:57], v[56:57], s[14:15], v[122:123]
	v_add_f64 v[68:69], v[68:69], v[108:109]
	v_add_f64 v[50:51], v[60:61], v[50:51]
	;; [unrolled: 1-line block ×10, first 2 shown]
	v_fma_f64 v[120:121], v[52:53], s[6:7], -v[230:231]
	v_add_f64 v[66:67], v[156:157], v[66:67]
	v_fma_f64 v[140:141], v[52:53], s[34:35], -v[128:129]
	v_add_f64 v[70:71], v[186:187], v[70:71]
	v_fma_f64 v[122:123], v[52:53], s[6:7], v[230:231]
	v_add_f64 v[54:55], v[126:127], v[54:55]
	v_add_f64 v[106:107], v[130:131], v[106:107]
	v_mul_f64 v[218:219], v[136:137], s[18:19]
	v_mul_f64 v[238:239], v[136:137], s[54:55]
	v_add_f64 v[26:27], v[30:31], v[26:27]
	v_fma_f64 v[30:31], v[52:53], s[34:35], v[128:129]
	v_fma_f64 v[52:53], v[48:49], s[34:35], -v[232:233]
	v_add_f64 v[68:69], v[154:155], v[68:69]
	v_mul_f64 v[136:137], v[136:137], s[50:51]
	v_add_f64 v[108:109], v[184:185], v[108:109]
	v_add_f64 v[110:111], v[188:189], v[110:111]
	;; [unrolled: 1-line block ×9, first 2 shown]
	v_fma_f64 v[56:57], v[48:49], s[34:35], v[232:233]
	v_fma_f64 v[60:61], v[48:49], s[6:7], -v[234:235]
	v_fma_f64 v[64:65], v[48:49], s[6:7], v[234:235]
	v_add_f64 v[66:67], v[200:201], v[66:67]
	v_add_f64 v[70:71], v[204:205], v[70:71]
	;; [unrolled: 1-line block ×3, first 2 shown]
	v_fma_f64 v[62:63], v[36:37], s[6:7], -v[212:213]
	v_add_f64 v[44:45], v[44:45], v[106:107]
	v_add_f64 v[22:23], v[22:23], v[26:27]
	v_fma_f64 v[26:27], v[48:49], s[0:1], -v[134:135]
	v_fma_f64 v[48:49], v[48:49], s[0:1], v[134:135]
	v_add_f64 v[68:69], v[198:199], v[68:69]
	v_fma_f64 v[126:127], v[36:37], s[14:15], -v[238:239]
	v_add_f64 v[108:109], v[202:203], v[108:109]
	v_add_f64 v[110:111], v[240:241], v[110:111]
	;; [unrolled: 1-line block ×9, first 2 shown]
	v_fma_f64 v[50:51], v[36:37], s[26:27], v[216:217]
	v_fma_f64 v[152:153], v[36:37], s[30:31], -v[214:215]
	v_fma_f64 v[116:117], v[36:37], s[26:27], -v[216:217]
	v_add_f64 v[54:55], v[56:57], v[66:67]
	v_fma_f64 v[128:129], v[36:37], s[14:15], v[238:239]
	v_add_f64 v[66:67], v[210:211], v[70:71]
	v_mul_f64 v[70:71], v[28:29], s[24:25]
	v_fma_f64 v[150:151], v[36:37], s[6:7], v[212:213]
	v_add_f64 v[18:19], v[18:19], v[22:23]
	v_fma_f64 v[22:23], v[36:37], s[34:35], -v[136:137]
	v_fma_f64 v[114:115], v[36:37], s[30:31], v[214:215]
	v_add_f64 v[52:53], v[52:53], v[68:69]
	v_mul_f64 v[68:69], v[28:29], s[20:21]
	v_add_f64 v[56:57], v[244:245], v[108:109]
	v_add_f64 v[60:61], v[60:61], v[110:111]
	;; [unrolled: 1-line block ×3, first 2 shown]
	v_fma_f64 v[120:121], v[36:37], s[8:9], -v[218:219]
	v_add_f64 v[34:35], v[246:247], v[34:35]
	v_add_f64 v[30:31], v[58:59], v[30:31]
	;; [unrolled: 1-line block ×4, first 2 shown]
	v_mul_f64 v[38:39], v[12:13], s[4:5]
	v_mul_f64 v[48:49], v[28:29], s[22:23]
	;; [unrolled: 1-line block ×3, first 2 shown]
	v_fma_f64 v[122:123], v[36:37], s[8:9], v[218:219]
	v_fma_f64 v[36:37], v[36:37], s[34:35], v[136:137]
	v_add_f64 v[64:65], v[64:65], v[112:113]
	v_add_f64 v[46:47], v[124:125], v[46:47]
	;; [unrolled: 1-line block ×3, first 2 shown]
	v_add_f64 v[20:21], v[32:33], -v[20:21]
	v_add_f64 v[14:15], v[14:15], v[18:19]
	v_mul_f64 v[18:19], v[28:29], s[18:19]
	v_mul_f64 v[28:29], v[28:29], s[36:37]
	v_add_f64 v[44:45], v[138:139], v[44:45]
	v_add_f64 v[52:53], v[62:63], v[52:53]
	;; [unrolled: 1-line block ×8, first 2 shown]
	v_fma_f64 v[60:61], v[12:13], s[0:1], -v[70:71]
	v_add_f64 v[26:27], v[120:121], v[26:27]
	v_add_f64 v[24:25], v[38:39], -v[24:25]
	v_fma_f64 v[32:33], v[12:13], s[16:17], -v[48:49]
	v_fma_f64 v[38:39], v[12:13], s[26:27], -v[58:59]
	v_fma_f64 v[50:51], v[12:13], s[26:27], v[58:59]
	v_fma_f64 v[58:59], v[12:13], s[14:15], -v[68:69]
	v_add_f64 v[36:37], v[36:37], v[64:65]
	v_add_f64 v[4:5], v[122:123], v[4:5]
	v_fma_f64 v[64:65], v[12:13], s[0:1], v[70:71]
	v_add_f64 v[46:47], v[114:115], v[46:47]
	v_fma_f64 v[68:69], v[12:13], s[14:15], v[68:69]
	v_fma_f64 v[66:67], v[12:13], s[8:9], -v[18:19]
	v_fma_f64 v[70:71], v[12:13], s[6:7], -v[28:29]
	v_fma_f64 v[28:29], v[12:13], s[6:7], v[28:29]
	v_fma_f64 v[18:19], v[12:13], s[8:9], v[18:19]
	v_add_f64 v[54:55], v[150:151], v[54:55]
	v_fma_f64 v[12:13], v[12:13], s[16:17], v[48:49]
	v_add_f64 v[10:11], v[10:11], v[14:15]
	v_add_f64 v[14:15], v[20:21], v[40:41]
	v_add_f64 v[40:41], v[60:61], v[42:43]
	v_add_f64 v[20:21], v[24:25], v[44:45]
	v_add_f64 v[24:25], v[32:33], v[52:53]
	v_add_f64 v[32:33], v[38:39], v[56:57]
	v_add_f64 v[38:39], v[50:51], v[62:63]
	v_add_f64 v[22:23], v[58:59], v[22:23]
	v_add_f64 v[42:43], v[64:65], v[46:47]
	v_add_f64 v[34:35], v[66:67], v[34:35]
	v_add_f64 v[26:27], v[70:71], v[26:27]
	v_add_f64 v[4:5], v[28:29], v[4:5]
	v_add_f64 v[18:19], v[18:19], v[30:31]
	v_add_f64 v[28:29], v[68:69], v[36:37]
	v_add_f64 v[12:13], v[12:13], v[54:55]
	v_lshl_add_u32 v30, v102, 7, v103
	ds_write2_b64 v30, v[10:11], v[14:15] offset1:1
	ds_write2_b64 v30, v[20:21], v[24:25] offset0:2 offset1:3
	ds_write2_b64 v30, v[32:33], v[22:23] offset0:4 offset1:5
	;; [unrolled: 1-line block ×7, first 2 shown]
	ds_write_b64 v30, v[8:9] offset:128
.LBB0_15:
	s_or_b32 exec_lo, exec_lo, s33
	v_add_nc_u32_e32 v107, 0x66, v102
	v_and_b32_e32 v4, 0xff, v102
	v_add_nc_u32_e32 v106, 0xcc, v102
	v_mov_b32_e32 v12, 0xf0f1
	v_add_nc_u32_e32 v5, 0x132, v102
	v_and_b32_e32 v108, 0xff, v107
	v_mul_lo_u16 v4, 0xf1, v4
	v_add_nc_u32_e32 v10, 0x198, v102
	s_load_dwordx2 s[2:3], s[2:3], 0x0
	v_mul_u32_u24_sdwa v13, v5, v12 dst_sel:DWORD dst_unused:UNUSED_PAD src0_sel:WORD_0 src1_sel:DWORD
	v_mul_lo_u16 v11, 0xf1, v108
	v_lshrrev_b16 v139, 12, v4
	v_mov_b32_e32 v4, 5
	s_waitcnt lgkmcnt(0)
	v_lshrrev_b32_e32 v142, 20, v13
	v_lshrrev_b16 v140, 12, v11
	v_mul_u32_u24_sdwa v11, v106, v12 dst_sel:DWORD dst_unused:UNUSED_PAD src0_sel:WORD_0 src1_sel:DWORD
	v_mul_lo_u16 v14, v139, 17
	v_mul_u32_u24_sdwa v12, v10, v12 dst_sel:DWORD dst_unused:UNUSED_PAD src0_sel:WORD_0 src1_sel:DWORD
	s_barrier
	v_mul_lo_u16 v15, v140, 17
	v_lshrrev_b32_e32 v141, 20, v11
	v_sub_nc_u16 v143, v102, v14
	v_lshrrev_b32_e32 v150, 20, v12
	v_mul_lo_u16 v12, v142, 17
	v_sub_nc_u16 v151, v107, v15
	v_mul_lo_u16 v11, v141, 17
	v_lshlrev_b32_sdwa v13, v4, v143 dst_sel:DWORD dst_unused:UNUSED_PAD src0_sel:DWORD src1_sel:BYTE_0
	v_mul_lo_u16 v14, v150, 17
	buffer_gl0_inv
	v_lshlrev_b32_sdwa v15, v4, v151 dst_sel:DWORD dst_unused:UNUSED_PAD src0_sel:DWORD src1_sel:BYTE_0
	v_sub_nc_u16 v152, v106, v11
	v_sub_nc_u16 v153, v5, v12
	s_clause 0x1
	global_load_dwordx4 v[18:21], v13, s[12:13] offset:16
	global_load_dwordx4 v[32:35], v13, s[12:13]
	v_sub_nc_u16 v154, v10, v14
	s_clause 0x1
	global_load_dwordx4 v[36:39], v15, s[12:13] offset:16
	global_load_dwordx4 v[40:43], v15, s[12:13]
	v_lshlrev_b32_sdwa v5, v4, v152 dst_sel:DWORD dst_unused:UNUSED_PAD src0_sel:DWORD src1_sel:WORD_0
	v_lshlrev_b32_sdwa v10, v4, v153 dst_sel:DWORD dst_unused:UNUSED_PAD src0_sel:DWORD src1_sel:WORD_0
	s_mov_b32 s4, 0xe8584caa
	v_lshlrev_b32_sdwa v4, v4, v154 dst_sel:DWORD dst_unused:UNUSED_PAD src0_sel:DWORD src1_sel:WORD_0
	s_clause 0x5
	global_load_dwordx4 v[44:47], v5, s[12:13]
	global_load_dwordx4 v[48:51], v5, s[12:13] offset:16
	global_load_dwordx4 v[52:55], v10, s[12:13]
	global_load_dwordx4 v[109:112], v10, s[12:13] offset:16
	;; [unrolled: 2-line block ×3, first 2 shown]
	ds_read2_b64 v[10:13], v147 offset0:152 offset1:254
	ds_read2_b64 v[121:124], v144 offset0:124 offset1:226
	;; [unrolled: 1-line block ×5, first 2 shown]
	ds_read_b64 v[4:5], v103 offset:11424
	s_mov_b32 s5, 0xbfebb67a
	s_mov_b32 s7, 0x3febb67a
	;; [unrolled: 1-line block ×3, first 2 shown]
	v_cmp_gt_u32_e64 s0, 51, v102
	s_waitcnt vmcnt(9) lgkmcnt(4)
	v_mul_f64 v[22:23], v[121:122], v[20:21]
	s_waitcnt vmcnt(8)
	v_mul_f64 v[14:15], v[12:13], v[34:35]
	s_waitcnt vmcnt(7)
	v_mul_f64 v[26:27], v[123:124], v[38:39]
	s_waitcnt vmcnt(6) lgkmcnt(3)
	v_mul_f64 v[24:25], v[125:126], v[42:43]
	s_waitcnt vmcnt(5)
	v_mul_f64 v[30:31], v[127:128], v[46:47]
	s_waitcnt vmcnt(4) lgkmcnt(2)
	v_mul_f64 v[56:57], v[129:130], v[50:51]
	s_waitcnt vmcnt(3) lgkmcnt(1)
	v_mul_f64 v[58:59], v[133:134], v[54:55]
	s_waitcnt vmcnt(2)
	v_mul_f64 v[60:61], v[131:132], v[111:112]
	s_waitcnt vmcnt(1)
	v_mul_f64 v[66:67], v[135:136], v[115:116]
	s_waitcnt vmcnt(0) lgkmcnt(0)
	v_mul_f64 v[137:138], v[4:5], v[119:120]
	v_mul_f64 v[34:35], v[78:79], v[34:35]
	;; [unrolled: 1-line block ×11, first 2 shown]
	v_fma_f64 v[70:71], v[78:79], v[32:33], v[14:15]
	v_fma_f64 v[78:79], v[88:89], v[18:19], v[22:23]
	;; [unrolled: 1-line block ×10, first 2 shown]
	v_fma_f64 v[88:89], v[12:13], v[32:33], -v[34:35]
	v_fma_f64 v[60:61], v[121:122], v[18:19], -v[20:21]
	;; [unrolled: 1-line block ×10, first 2 shown]
	v_mov_b32_e32 v110, 0x198
	v_mov_b32_e32 v111, 3
	v_add_f64 v[34:35], v[72:73], v[70:71]
	v_add_f64 v[2:3], v[70:71], v[78:79]
	;; [unrolled: 1-line block ×10, first 2 shown]
	v_add_nc_u32_e32 v109, 0xc00, v103
	v_add_f64 v[36:37], v[88:89], -v[60:61]
	ds_read2_b64 v[22:25], v103 offset1:102
	v_add_f64 v[46:47], v[92:93], -v[84:85]
	ds_read2_b64 v[12:15], v146 offset0:76 offset1:178
	v_add_f64 v[50:51], v[86:87], -v[66:67]
	s_waitcnt lgkmcnt(0)
	v_add_f64 v[52:53], v[90:91], -v[94:95]
	s_barrier
	v_add_f64 v[54:55], v[98:99], -v[96:97]
	buffer_gl0_inv
	v_add_f64 v[34:35], v[34:35], v[78:79]
	v_fma_f64 v[2:3], v[2:3], -0.5, v[72:73]
	v_mul_u32_u24_sdwa v73, v139, v110 dst_sel:DWORD dst_unused:UNUSED_PAD src0_sel:WORD_0 src1_sel:DWORD
	v_fma_f64 v[48:49], v[18:19], -0.5, v[74:75]
	v_add_f64 v[38:39], v[38:39], v[64:65]
	v_fma_f64 v[20:21], v[20:21], -0.5, v[80:81]
	v_add_f64 v[40:41], v[40:41], v[68:69]
	;; [unrolled: 2-line block ×4, first 2 shown]
	v_lshlrev_b32_sdwa v75, v111, v143 dst_sel:DWORD dst_unused:UNUSED_PAD src0_sel:DWORD src1_sel:BYTE_0
	v_mul_u32_u24_e32 v74, 0x198, v141
	v_mul_u32_u24_e32 v77, 0x198, v142
	v_mul_u32_u24_sdwa v83, v140, v110 dst_sel:DWORD dst_unused:UNUSED_PAD src0_sel:WORD_0 src1_sel:DWORD
	v_mul_u32_u24_e32 v82, 0x198, v150
	v_add3_u32 v76, 0, v73, v75
	v_add_nc_u32_e32 v72, 0x1400, v103
	v_fma_f64 v[44:45], v[36:37], s[4:5], v[2:3]
	v_fma_f64 v[2:3], v[36:37], s[6:7], v[2:3]
	;; [unrolled: 1-line block ×10, first 2 shown]
	v_lshlrev_b32_sdwa v52, v111, v152 dst_sel:DWORD dst_unused:UNUSED_PAD src0_sel:DWORD src1_sel:WORD_0
	v_lshlrev_b32_sdwa v53, v111, v153 dst_sel:DWORD dst_unused:UNUSED_PAD src0_sel:DWORD src1_sel:WORD_0
	v_lshlrev_b32_sdwa v55, v111, v151 dst_sel:DWORD dst_unused:UNUSED_PAD src0_sel:DWORD src1_sel:BYTE_0
	v_lshlrev_b32_sdwa v54, v111, v154 dst_sel:DWORD dst_unused:UNUSED_PAD src0_sel:DWORD src1_sel:WORD_0
	v_add3_u32 v75, 0, v74, v52
	v_add3_u32 v74, 0, v77, v53
	v_add3_u32 v77, 0, v83, v55
	v_add3_u32 v73, 0, v82, v54
	ds_write2_b64 v76, v[34:35], v[44:45] offset1:17
	ds_write_b64 v76, v[2:3] offset:272
	ds_write2_b64 v77, v[42:43], v[36:37] offset1:17
	ds_write_b64 v77, v[46:47] offset:272
	;; [unrolled: 2-line block ×5, first 2 shown]
	s_waitcnt lgkmcnt(0)
	s_barrier
	buffer_gl0_inv
	ds_read2_b64 v[32:35], v103 offset1:102
	ds_read2_b64 v[36:39], v146 offset0:127 offset1:229
	ds_read2_b64 v[40:43], v109 offset0:126 offset1:228
	;; [unrolled: 1-line block ×5, first 2 shown]
	s_and_saveexec_b32 s1, s0
	s_cbranch_execz .LBB0_17
; %bb.16:
	v_add_nc_u32_e32 v0, 0x660, v103
	v_add_nc_u32_e32 v1, 0x1650, v103
	;; [unrolled: 1-line block ×3, first 2 shown]
	ds_read2_b64 v[18:21], v0 offset1:255
	ds_read2_b64 v[4:7], v1 offset1:255
	;; [unrolled: 1-line block ×3, first 2 shown]
.LBB0_17:
	s_or_b32 exec_lo, exec_lo, s1
	v_add_f64 v[80:81], v[88:89], v[60:61]
	v_add_f64 v[82:83], v[92:93], v[84:85]
	;; [unrolled: 1-line block ×6, first 2 shown]
	v_add_f64 v[70:71], v[70:71], -v[78:79]
	v_add_f64 v[78:79], v[24:25], v[92:93]
	v_add_f64 v[62:63], v[28:29], -v[62:63]
	v_add_f64 v[86:87], v[12:13], v[86:87]
	;; [unrolled: 2-line block ×4, first 2 shown]
	v_add_f64 v[26:27], v[26:27], -v[58:59]
	s_waitcnt lgkmcnt(0)
	s_barrier
	buffer_gl0_inv
	v_fma_f64 v[22:23], v[80:81], -0.5, v[22:23]
	v_fma_f64 v[24:25], v[82:83], -0.5, v[24:25]
	;; [unrolled: 1-line block ×5, first 2 shown]
	v_add_f64 v[58:59], v[88:89], v[60:61]
	v_add_f64 v[60:61], v[78:79], v[84:85]
	;; [unrolled: 1-line block ×5, first 2 shown]
	v_fma_f64 v[68:69], v[70:71], s[6:7], v[22:23]
	v_fma_f64 v[22:23], v[70:71], s[4:5], v[22:23]
	;; [unrolled: 1-line block ×10, first 2 shown]
	v_add_nc_u32_e32 v10, 0x400, v103
	v_add_nc_u32_e32 v11, 0x1c00, v103
	;; [unrolled: 1-line block ×3, first 2 shown]
	ds_write2_b64 v76, v[58:59], v[68:69] offset1:17
	ds_write_b64 v76, v[22:23] offset:272
	ds_write2_b64 v77, v[60:61], v[70:71] offset1:17
	ds_write_b64 v77, v[24:25] offset:272
	;; [unrolled: 2-line block ×5, first 2 shown]
	s_waitcnt lgkmcnt(0)
	s_barrier
	buffer_gl0_inv
	ds_read2_b64 v[22:25], v103 offset1:102
	ds_read2_b64 v[64:67], v10 offset0:127 offset1:229
	ds_read2_b64 v[56:59], v109 offset0:126 offset1:228
	ds_read2_b64 v[68:71], v72 offset0:125 offset1:227
	ds_read2_b64 v[60:63], v11 offset0:124 offset1:226
	ds_read2_b64 v[72:75], v26 offset0:123 offset1:225
	s_and_saveexec_b32 s1, s0
	s_cbranch_execz .LBB0_19
; %bb.18:
	v_add_nc_u32_e32 v8, 0x660, v103
	v_add_nc_u32_e32 v9, 0x1650, v103
	v_add_nc_u32_e32 v10, 0x2640, v103
	ds_read2_b64 v[28:31], v8 offset1:255
	ds_read2_b64 v[14:17], v9 offset1:255
	;; [unrolled: 1-line block ×3, first 2 shown]
.LBB0_19:
	s_or_b32 exec_lo, exec_lo, s1
	v_mul_lo_u16 v12, 0xa1, v108
	v_subrev_nc_u32_e32 v13, 51, v102
	v_mov_b32_e32 v27, 5
	s_mov_b32 s6, s4
	v_lshrrev_b16 v154, 13, v12
	v_cndmask_b32_e64 v155, v13, v102, s0
	v_mov_b32_e32 v13, 0
	v_mul_lo_u16 v26, v154, 51
	v_mul_i32_i24_e32 v12, 5, v155
	v_sub_nc_u16 v156, v107, v26
	v_lshlrev_b64 v[12:13], 4, v[12:13]
	v_mul_u32_u24_sdwa v26, v156, v27 dst_sel:DWORD dst_unused:UNUSED_PAD src0_sel:BYTE_0 src1_sel:DWORD
	v_mov_b32_e32 v27, 0xa0a1
	v_add_co_u32 v12, s1, s12, v12
	v_add_co_ci_u32_e64 v13, s1, s13, v13, s1
	v_lshlrev_b32_e32 v26, 4, v26
	v_mul_u32_u24_sdwa v27, v106, v27 dst_sel:DWORD dst_unused:UNUSED_PAD src0_sel:WORD_0 src1_sel:DWORD
	s_clause 0x5
	global_load_dwordx4 v[78:81], v[12:13], off offset:576
	global_load_dwordx4 v[82:85], v[12:13], off offset:608
	global_load_dwordx4 v[86:89], v26, s[12:13] offset:576
	global_load_dwordx4 v[90:93], v26, s[12:13] offset:608
	global_load_dwordx4 v[94:97], v[12:13], off offset:544
	global_load_dwordx4 v[108:111], v26, s[12:13] offset:544
	v_lshrrev_b32_e32 v27, 21, v27
	s_clause 0x3
	global_load_dwordx4 v[112:115], v[12:13], off offset:560
	global_load_dwordx4 v[116:119], v[12:13], off offset:592
	global_load_dwordx4 v[120:123], v26, s[12:13] offset:592
	global_load_dwordx4 v[124:127], v26, s[12:13] offset:560
	v_cmp_lt_u32_e64 s1, 50, v102
	v_mul_lo_u16 v27, v27, 51
	v_sub_nc_u16 v27, v106, v27
	v_and_b32_e32 v157, 0xffff, v27
	v_mul_u32_u24_e32 v12, 5, v157
	v_lshlrev_b32_e32 v12, 4, v12
	s_clause 0x4
	global_load_dwordx4 v[128:131], v12, s[12:13] offset:576
	global_load_dwordx4 v[132:135], v12, s[12:13] offset:608
	;; [unrolled: 1-line block ×5, first 2 shown]
	s_waitcnt vmcnt(0) lgkmcnt(0)
	s_barrier
	buffer_gl0_inv
	v_mul_f64 v[12:13], v[48:49], v[80:81]
	v_mul_f64 v[26:27], v[52:53], v[84:85]
	;; [unrolled: 1-line block ×8, first 2 shown]
	v_fma_f64 v[76:77], v[68:69], v[78:79], -v[12:13]
	v_fma_f64 v[12:13], v[72:73], v[82:83], -v[26:27]
	v_mul_f64 v[72:73], v[70:71], v[88:89]
	v_mul_f64 v[88:89], v[74:75], v[92:93]
	v_fma_f64 v[68:69], v[70:71], v[86:87], -v[98:99]
	v_fma_f64 v[26:27], v[74:75], v[90:91], -v[148:149]
	v_mul_f64 v[70:71], v[64:65], v[96:97]
	v_mul_f64 v[74:75], v[56:57], v[114:115]
	;; [unrolled: 1-line block ×6, first 2 shown]
	v_fma_f64 v[78:79], v[48:49], v[78:79], v[80:81]
	v_fma_f64 v[148:149], v[52:53], v[82:83], v[84:85]
	v_fma_f64 v[48:49], v[64:65], v[94:95], -v[150:151]
	v_mul_f64 v[82:83], v[40:41], v[114:115]
	v_mul_f64 v[84:85], v[44:45], v[118:119]
	;; [unrolled: 1-line block ×4, first 2 shown]
	v_add_f64 v[80:81], v[76:77], v[12:13]
	v_fma_f64 v[150:151], v[50:51], v[86:87], v[72:73]
	v_fma_f64 v[54:55], v[54:55], v[90:91], v[88:89]
	v_fma_f64 v[50:51], v[66:67], v[108:109], -v[152:153]
	v_add_f64 v[72:73], v[68:69], v[26:27]
	v_mul_f64 v[86:87], v[42:43], v[126:127]
	v_mul_f64 v[88:89], v[46:47], v[122:123]
	;; [unrolled: 1-line block ×4, first 2 shown]
	v_fma_f64 v[70:71], v[36:37], v[94:95], v[70:71]
	v_fma_f64 v[64:65], v[40:41], v[112:113], v[74:75]
	;; [unrolled: 1-line block ×5, first 2 shown]
	v_add_f64 v[40:41], v[78:79], v[148:149]
	v_add_f64 v[92:93], v[78:79], -v[148:149]
	v_fma_f64 v[94:95], v[38:39], v[108:109], v[96:97]
	v_mul_f64 v[110:111], v[30:31], v[138:139]
	v_mul_f64 v[126:127], v[20:21], v[138:139]
	v_fma_f64 v[74:75], v[56:57], v[112:113], -v[82:83]
	v_fma_f64 v[44:45], v[60:61], v[116:117], -v[84:85]
	;; [unrolled: 1-line block ×3, first 2 shown]
	v_fma_f64 v[80:81], v[80:81], -0.5, v[48:49]
	v_fma_f64 v[82:83], v[2:3], v[132:133], v[118:119]
	v_add_f64 v[96:97], v[150:151], v[54:55]
	v_add_f64 v[98:99], v[150:151], -v[54:55]
	v_fma_f64 v[108:109], v[72:73], -0.5, v[50:51]
	v_fma_f64 v[72:73], v[58:59], v[124:125], -v[86:87]
	v_fma_f64 v[42:43], v[62:63], v[120:121], -v[88:89]
	v_fma_f64 v[84:85], v[6:7], v[128:129], v[90:91]
	v_fma_f64 v[36:37], v[10:11], v[132:133], -v[122:123]
	v_add_f64 v[58:59], v[76:77], -v[12:13]
	v_add_f64 v[88:89], v[68:69], -v[26:27]
	v_add_f64 v[56:57], v[64:65], v[66:67]
	v_mul_f64 v[114:115], v[8:9], v[146:147]
	v_add_f64 v[60:61], v[52:53], v[46:47]
	v_fma_f64 v[62:63], v[40:41], -0.5, v[70:71]
	v_add_f64 v[70:71], v[70:71], v[78:79]
	v_mul_f64 v[116:117], v[0:1], v[146:147]
	v_fma_f64 v[86:87], v[20:21], v[136:137], v[110:111]
	v_fma_f64 v[40:41], v[30:31], v[136:137], -v[126:127]
	v_mov_b32_e32 v132, 0x990
	v_fma_f64 v[16:17], v[92:93], s[6:7], v[80:81]
	v_fma_f64 v[10:11], v[92:93], s[4:5], v[80:81]
	v_fma_f64 v[90:91], v[96:97], -0.5, v[94:95]
	v_add_f64 v[92:93], v[32:33], v[64:65]
	v_fma_f64 v[2:3], v[98:99], s[4:5], v[108:109]
	v_fma_f64 v[6:7], v[98:99], s[6:7], v[108:109]
	v_add_f64 v[96:97], v[74:75], -v[44:45]
	v_add_f64 v[98:99], v[34:35], v[52:53]
	v_add_f64 v[108:109], v[72:73], -v[42:43]
	v_add_f64 v[94:95], v[94:95], v[150:151]
	v_add_f64 v[110:111], v[84:85], v[82:83]
	;; [unrolled: 1-line block ×3, first 2 shown]
	v_fma_f64 v[32:33], v[56:57], -0.5, v[32:33]
	v_fma_f64 v[34:35], v[60:61], -0.5, v[34:35]
	v_fma_f64 v[80:81], v[58:59], s[4:5], v[62:63]
	v_fma_f64 v[20:21], v[58:59], s[6:7], v[62:63]
	v_add_f64 v[118:119], v[38:39], -v[36:37]
	v_add_f64 v[120:121], v[84:85], -v[82:83]
	v_add_f64 v[122:123], v[70:71], v[148:149]
	v_mul_f64 v[56:57], v[16:17], s[4:5]
	v_mul_f64 v[58:59], v[10:11], s[4:5]
	v_fma_f64 v[78:79], v[88:89], s[6:7], v[90:91]
	v_fma_f64 v[30:31], v[88:89], s[4:5], v[90:91]
	v_mul_f64 v[62:63], v[2:3], s[4:5]
	v_mul_f64 v[60:61], v[6:7], s[4:5]
	;; [unrolled: 1-line block ×4, first 2 shown]
	v_add_f64 v[92:93], v[92:93], v[66:67]
	v_add_f64 v[98:99], v[98:99], v[46:47]
	;; [unrolled: 1-line block ×3, first 2 shown]
	v_fma_f64 v[94:95], v[110:111], -0.5, v[86:87]
	v_fma_f64 v[110:111], v[112:113], -0.5, v[40:41]
	v_fma_f64 v[112:113], v[96:97], s[4:5], v[32:33]
	v_fma_f64 v[128:129], v[108:109], s[4:5], v[34:35]
	;; [unrolled: 1-line block ×4, first 2 shown]
	v_fma_f64 v[32:33], v[8:9], v[144:145], -v[116:117]
	v_fma_f64 v[124:125], v[80:81], 0.5, v[56:57]
	v_fma_f64 v[126:127], v[20:21], -0.5, v[58:59]
	v_fma_f64 v[62:63], v[78:79], -0.5, v[62:63]
	v_fma_f64 v[130:131], v[30:31], 0.5, v[60:61]
	v_fma_f64 v[58:59], v[4:5], v[140:141], v[88:89]
	v_fma_f64 v[70:71], v[14:15], v[140:141], -v[90:91]
	v_fma_f64 v[60:61], v[0:1], v[144:145], v[114:115]
	v_add_f64 v[0:1], v[92:93], v[122:123]
	v_add_f64 v[4:5], v[92:93], -v[122:123]
	v_add_f64 v[8:9], v[98:99], v[54:55]
	v_add_f64 v[14:15], v[98:99], -v[54:55]
	v_fma_f64 v[34:35], v[118:119], s[4:5], v[94:95]
	v_fma_f64 v[54:55], v[118:119], s[6:7], v[94:95]
	;; [unrolled: 1-line block ×3, first 2 shown]
	v_mov_b32_e32 v88, 3
	v_cndmask_b32_e64 v89, 0, 0x990, s1
	v_lshlrev_b32_e32 v90, 3, v155
	v_lshlrev_b32_sdwa v88, v88, v156 dst_sel:DWORD dst_unused:UNUSED_PAD src0_sel:DWORD src1_sel:BYTE_0
	v_add_f64 v[91:92], v[112:113], v[124:125]
	v_add_f64 v[93:94], v[96:97], v[126:127]
	v_add_f64 v[98:99], v[112:113], -v[124:125]
	v_add_f64 v[95:96], v[96:97], -v[126:127]
	v_add_f64 v[114:115], v[108:109], v[62:63]
	v_add_f64 v[108:109], v[108:109], -v[62:63]
	v_fma_f64 v[62:63], v[120:121], s[4:5], v[110:111]
	v_add_f64 v[112:113], v[128:129], v[130:131]
	v_add_f64 v[116:117], v[128:129], -v[130:131]
	v_mul_u32_u24_sdwa v97, v154, v132 dst_sel:DWORD dst_unused:UNUSED_PAD src0_sel:WORD_0 src1_sel:DWORD
	v_add3_u32 v90, 0, v89, v90
	v_add3_u32 v89, 0, v97, v88
	v_lshl_add_u32 v88, v157, 3, 0
	ds_write2_b64 v90, v[0:1], v[91:92] offset1:51
	ds_write2_b64 v90, v[93:94], v[4:5] offset0:102 offset1:153
	ds_write2_b64 v90, v[98:99], v[95:96] offset0:204 offset1:255
	ds_write2_b64 v89, v[8:9], v[112:113] offset1:51
	ds_write2_b64 v89, v[114:115], v[14:15] offset0:102 offset1:153
	ds_write2_b64 v89, v[116:117], v[108:109] offset0:204 offset1:255
	s_and_saveexec_b32 s1, s0
	s_cbranch_execz .LBB0_21
; %bb.20:
	v_add_f64 v[0:1], v[58:59], v[60:61]
	v_add_f64 v[4:5], v[70:71], -v[32:33]
	v_add_f64 v[14:15], v[18:19], v[58:59]
	v_add_f64 v[84:85], v[86:87], v[84:85]
	v_mul_f64 v[86:87], v[56:57], s[4:5]
	v_mul_f64 v[8:9], v[62:63], s[4:5]
	v_fma_f64 v[0:1], v[0:1], -0.5, v[18:19]
	v_add_f64 v[14:15], v[14:15], v[60:61]
	v_add_f64 v[18:19], v[84:85], v[82:83]
	v_fma_f64 v[82:83], v[34:35], 0.5, v[86:87]
	v_fma_f64 v[8:9], v[54:55], -0.5, v[8:9]
	v_fma_f64 v[84:85], v[4:5], s[6:7], v[0:1]
	v_fma_f64 v[0:1], v[4:5], s[4:5], v[0:1]
	v_add_f64 v[4:5], v[14:15], -v[18:19]
	v_add_f64 v[14:15], v[14:15], v[18:19]
	v_add_f64 v[18:19], v[84:85], -v[8:9]
	v_add_f64 v[86:87], v[0:1], v[82:83]
	v_add_f64 v[8:9], v[84:85], v[8:9]
	v_add_f64 v[0:1], v[0:1], -v[82:83]
	v_add_nc_u32_e32 v82, 0x2000, v88
	v_add_nc_u32_e32 v83, 0x2800, v88
	ds_write2_b64 v82, v[14:15], v[86:87] offset0:200 offset1:251
	ds_write2_b64 v83, v[8:9], v[4:5] offset0:46 offset1:97
	;; [unrolled: 1-line block ×3, first 2 shown]
.LBB0_21:
	s_or_b32 exec_lo, exec_lo, s1
	v_add_f64 v[0:1], v[74:75], v[44:45]
	v_add_f64 v[4:5], v[72:73], v[42:43]
	;; [unrolled: 1-line block ×3, first 2 shown]
	v_add_f64 v[14:15], v[64:65], -v[66:67]
	v_add_f64 v[18:19], v[48:49], v[76:77]
	v_mul_f64 v[16:17], v[16:17], 0.5
	v_add_f64 v[48:49], v[24:25], v[72:73]
	v_add_f64 v[50:51], v[50:51], v[68:69]
	v_mul_f64 v[10:11], v[10:11], -0.5
	v_mul_f64 v[2:3], v[2:3], -0.5
	v_mul_f64 v[6:7], v[6:7], 0.5
	v_add_nc_u32_e32 v82, 0x1c00, v103
	s_waitcnt lgkmcnt(0)
	s_barrier
	buffer_gl0_inv
	v_fma_f64 v[0:1], v[0:1], -0.5, v[22:23]
	v_add_f64 v[22:23], v[52:53], -v[46:47]
	v_fma_f64 v[4:5], v[4:5], -0.5, v[24:25]
	v_add_f64 v[24:25], v[8:9], v[44:45]
	v_add_f64 v[18:19], v[18:19], v[12:13]
	v_fma_f64 v[16:17], v[80:81], s[6:7], v[16:17]
	v_add_f64 v[42:43], v[48:49], v[42:43]
	v_add_f64 v[26:27], v[50:51], v[26:27]
	v_fma_f64 v[20:21], v[20:21], s[6:7], v[10:11]
	v_fma_f64 v[50:51], v[78:79], s[6:7], v[2:3]
	v_fma_f64 v[48:49], v[30:31], s[6:7], v[6:7]
	v_add_nc_u32_e32 v80, 0x2400, v103
	v_add_nc_u32_e32 v8, 0x1000, v103
	;; [unrolled: 1-line block ×4, first 2 shown]
	v_fma_f64 v[44:45], v[14:15], s[6:7], v[0:1]
	v_fma_f64 v[46:47], v[14:15], s[4:5], v[0:1]
	v_fma_f64 v[52:53], v[22:23], s[6:7], v[4:5]
	v_fma_f64 v[22:23], v[22:23], s[4:5], v[4:5]
	v_add_nc_u32_e32 v4, 0x400, v103
	ds_read2_b64 v[0:3], v103 offset1:102
	ds_read_b64 v[30:31], v103 offset:11424
	ds_read2_b64 v[4:7], v4 offset0:76 offset1:178
	ds_read2_b64 v[8:11], v8 offset0:100 offset1:202
	;; [unrolled: 1-line block ×3, first 2 shown]
	v_add_f64 v[64:65], v[24:25], v[18:19]
	v_add_f64 v[66:67], v[24:25], -v[18:19]
	v_add_f64 v[68:69], v[42:43], v[26:27]
	v_add_f64 v[42:43], v[42:43], -v[26:27]
	v_add_f64 v[72:73], v[44:45], v[16:17]
	v_add_f64 v[74:75], v[46:47], v[20:21]
	v_add_f64 v[44:45], v[44:45], -v[16:17]
	v_add_f64 v[46:47], v[46:47], -v[20:21]
	v_add_f64 v[78:79], v[22:23], v[50:51]
	v_add_f64 v[50:51], v[22:23], -v[50:51]
	ds_read2_b64 v[16:19], v80 offset0:72 offset1:174
	ds_read2_b64 v[20:23], v81 offset0:152 offset1:254
	;; [unrolled: 1-line block ×3, first 2 shown]
	v_add_f64 v[76:77], v[52:53], v[48:49]
	v_add_f64 v[48:49], v[52:53], -v[48:49]
	s_waitcnt lgkmcnt(0)
	s_barrier
	buffer_gl0_inv
	ds_write2_b64 v90, v[64:65], v[72:73] offset1:51
	ds_write2_b64 v90, v[74:75], v[66:67] offset0:102 offset1:153
	ds_write2_b64 v90, v[44:45], v[46:47] offset0:204 offset1:255
	ds_write2_b64 v89, v[68:69], v[76:77] offset1:51
	ds_write2_b64 v89, v[78:79], v[42:43] offset0:102 offset1:153
	ds_write2_b64 v89, v[48:49], v[50:51] offset0:204 offset1:255
	s_and_saveexec_b32 s1, s0
	s_cbranch_execz .LBB0_23
; %bb.22:
	v_add_f64 v[42:43], v[70:71], v[32:33]
	v_add_f64 v[44:45], v[28:29], v[70:71]
	v_add_f64 v[46:47], v[58:59], -v[60:61]
	v_add_f64 v[38:39], v[40:41], v[38:39]
	v_mul_f64 v[40:41], v[56:57], 0.5
	v_mul_f64 v[48:49], v[62:63], -0.5
	s_mov_b32 s4, 0xe8584caa
	s_mov_b32 s5, 0x3febb67a
	;; [unrolled: 1-line block ×4, first 2 shown]
	v_fma_f64 v[28:29], v[42:43], -0.5, v[28:29]
	v_add_f64 v[32:33], v[44:45], v[32:33]
	v_add_f64 v[36:37], v[38:39], v[36:37]
	v_fma_f64 v[34:35], v[34:35], s[4:5], v[40:41]
	v_fma_f64 v[38:39], v[54:55], s[4:5], v[48:49]
	;; [unrolled: 1-line block ×4, first 2 shown]
	v_add_f64 v[42:43], v[32:33], v[36:37]
	v_add_f64 v[32:33], v[32:33], -v[36:37]
	v_add_f64 v[36:37], v[40:41], v[34:35]
	v_add_f64 v[44:45], v[28:29], v[38:39]
	v_add_f64 v[34:35], v[40:41], -v[34:35]
	v_add_f64 v[28:29], v[28:29], -v[38:39]
	v_add_nc_u32_e32 v38, 0x2000, v88
	v_add_nc_u32_e32 v39, 0x2800, v88
	ds_write2_b64 v38, v[42:43], v[36:37] offset0:200 offset1:251
	ds_write2_b64 v39, v[44:45], v[32:33] offset0:46 offset1:97
	;; [unrolled: 1-line block ×3, first 2 shown]
.LBB0_23:
	s_or_b32 exec_lo, exec_lo, s1
	s_waitcnt lgkmcnt(0)
	s_barrier
	buffer_gl0_inv
	s_and_saveexec_b32 s0, vcc_lo
	s_cbranch_execz .LBB0_25
; %bb.24:
	v_lshlrev_b32_e32 v28, 2, v106
	v_mov_b32_e32 v29, 0
	v_mul_lo_u32 v88, s2, v105
	v_mul_hi_u32 v117, 0xd62b80d7, v106
	v_add_nc_u32_e32 v84, 0x1800, v103
	v_add_nc_u32_e32 v89, 0x800, v103
	v_lshlrev_b64 v[32:33], 4, v[28:29]
	v_lshlrev_b32_e32 v28, 2, v107
	v_add_nc_u32_e32 v107, 0x1000, v103
	v_add_nc_u32_e32 v92, 0x1c00, v103
	;; [unrolled: 1-line block ×4, first 2 shown]
	v_add_co_u32 v34, vcc_lo, s12, v32
	v_add_co_ci_u32_e32 v35, vcc_lo, s13, v33, vcc_lo
	v_lshlrev_b64 v[32:33], 4, v[28:29]
	v_add_co_u32 v44, vcc_lo, 0x1210, v34
	v_add_co_ci_u32_e32 v45, vcc_lo, 0, v35, vcc_lo
	v_add_co_u32 v34, vcc_lo, 0x1000, v34
	v_add_co_ci_u32_e32 v35, vcc_lo, 0, v35, vcc_lo
	v_add_co_u32 v40, vcc_lo, s12, v32
	v_lshlrev_b32_e32 v28, 2, v102
	v_add_co_ci_u32_e32 v41, vcc_lo, s13, v33, vcc_lo
	v_add_co_u32 v48, vcc_lo, 0x1000, v40
	v_lshlrev_b64 v[56:57], 4, v[28:29]
	v_add_co_ci_u32_e32 v49, vcc_lo, 0, v41, vcc_lo
	v_add_co_u32 v60, vcc_lo, 0x1210, v40
	v_add_co_ci_u32_e32 v61, vcc_lo, 0, v41, vcc_lo
	v_add_co_u32 v28, vcc_lo, s12, v56
	v_add_co_ci_u32_e32 v64, vcc_lo, s13, v57, vcc_lo
	s_clause 0x1
	global_load_dwordx4 v[32:35], v[34:35], off offset:528
	global_load_dwordx4 v[36:39], v[44:45], off offset:48
	v_add_co_u32 v76, vcc_lo, 0x1210, v28
	v_add_co_ci_u32_e32 v77, vcc_lo, 0, v64, vcc_lo
	v_add_co_u32 v68, vcc_lo, 0x1000, v28
	s_clause 0x5
	global_load_dwordx4 v[40:43], v[44:45], off offset:32
	global_load_dwordx4 v[44:47], v[44:45], off offset:16
	;; [unrolled: 1-line block ×6, first 2 shown]
	v_add_co_ci_u32_e32 v69, vcc_lo, 0, v64, vcc_lo
	s_clause 0x3
	global_load_dwordx4 v[64:67], v[76:77], off offset:16
	global_load_dwordx4 v[68:71], v[68:69], off offset:528
	;; [unrolled: 1-line block ×4, first 2 shown]
	v_mul_lo_u32 v28, s3, v104
	v_mad_u64_u32 v[104:105], null, s2, v104, 0
	ds_read_b64 v[115:116], v103 offset:11424
	ds_read2_b64 v[80:83], v103 offset1:102
	ds_read2_b64 v[84:87], v84 offset0:48 offset1:150
	v_lshlrev_b64 v[100:101], 4, v[100:101]
	v_mov_b32_e32 v103, v29
	s_mov_b32 s6, 0x134454ff
	v_add3_u32 v105, v105, v88, v28
	ds_read2_b64 v[88:91], v89 offset0:152 offset1:254
	ds_read2_b64 v[92:95], v92 offset0:124 offset1:226
	;; [unrolled: 1-line block ×5, first 2 shown]
	v_lshrrev_b32_e32 v28, 8, v117
	v_lshlrev_b64 v[102:103], 4, v[102:103]
	v_lshlrev_b64 v[104:105], 4, v[104:105]
	s_mov_b32 s7, 0x3fee6f0e
	s_mov_b32 s9, 0xbfee6f0e
	v_mad_u32_u24 v28, 0x4c8, v28, v106
	s_mov_b32 s8, s6
	s_mov_b32 s2, 0x4755a5e
	v_add_co_u32 v104, vcc_lo, s10, v104
	v_add_co_ci_u32_e32 v105, vcc_lo, s11, v105, vcc_lo
	v_lshlrev_b64 v[28:29], 4, v[28:29]
	v_add_co_u32 v104, vcc_lo, v104, v100
	v_add_co_ci_u32_e32 v105, vcc_lo, v105, v101, vcc_lo
	s_mov_b32 s3, 0xbfe2cf23
	v_add_co_u32 v100, vcc_lo, v104, v102
	v_add_co_ci_u32_e32 v101, vcc_lo, v105, v103, vcc_lo
	v_add_co_u32 v102, vcc_lo, v104, v28
	v_add_co_ci_u32_e32 v103, vcc_lo, v105, v29, vcc_lo
	s_mov_b32 s5, 0x3fe2cf23
	s_mov_b32 s4, s2
	v_add_co_u32 v104, vcc_lo, 0x1000, v100
	v_add_co_ci_u32_e32 v105, vcc_lo, 0, v101, vcc_lo
	v_add_co_u32 v117, vcc_lo, 0x2000, v100
	v_add_co_ci_u32_e32 v118, vcc_lo, 0, v101, vcc_lo
	;; [unrolled: 2-line block ×3, first 2 shown]
	s_mov_b32 s0, 0x372fe950
	v_add_co_u32 v121, vcc_lo, 0x4800, v100
	s_mov_b32 s1, 0x3fd3c6ef
	v_add_co_ci_u32_e32 v122, vcc_lo, 0, v101, vcc_lo
	v_add_co_u32 v123, vcc_lo, 0x1800, v100
	v_add_co_ci_u32_e32 v124, vcc_lo, 0, v101, vcc_lo
	v_add_co_u32 v125, vcc_lo, 0x2800, v100
	;; [unrolled: 2-line block ×4, first 2 shown]
	v_add_co_ci_u32_e32 v130, vcc_lo, 0, v103, vcc_lo
	s_waitcnt vmcnt(11)
	v_mul_f64 v[131:132], v[22:23], v[34:35]
	s_waitcnt vmcnt(10)
	v_mul_f64 v[135:136], v[30:31], v[38:39]
	s_waitcnt lgkmcnt(4)
	v_mul_f64 v[34:35], v[90:91], v[34:35]
	v_mul_f64 v[38:39], v[115:116], v[38:39]
	s_waitcnt vmcnt(9)
	v_mul_f64 v[133:134], v[26:27], v[42:43]
	s_waitcnt vmcnt(8)
	v_mul_f64 v[28:29], v[12:13], v[46:47]
	v_mul_f64 v[46:47], v[84:85], v[46:47]
	s_waitcnt lgkmcnt(3)
	v_mul_f64 v[42:43], v[94:95], v[42:43]
	s_waitcnt vmcnt(4)
	v_mul_f64 v[137:138], v[10:11], v[62:63]
	v_mul_f64 v[139:140], v[20:21], v[50:51]
	;; [unrolled: 1-line block ×4, first 2 shown]
	s_waitcnt lgkmcnt(1)
	v_mul_f64 v[62:63], v[109:110], v[62:63]
	v_mul_f64 v[58:59], v[92:93], v[58:59]
	;; [unrolled: 1-line block ×3, first 2 shown]
	s_waitcnt lgkmcnt(0)
	v_mul_f64 v[54:55], v[113:114], v[54:55]
	s_waitcnt vmcnt(3)
	v_mul_f64 v[145:146], v[8:9], v[66:67]
	s_waitcnt vmcnt(2)
	;; [unrolled: 2-line block ×4, first 2 shown]
	v_mul_f64 v[151:152], v[16:17], v[78:79]
	v_mul_f64 v[66:67], v[107:108], v[66:67]
	;; [unrolled: 1-line block ×5, first 2 shown]
	v_fma_f64 v[22:23], v[22:23], v[32:33], v[34:35]
	v_fma_f64 v[30:31], v[30:31], v[36:37], v[38:39]
	v_fma_f64 v[28:29], v[84:85], v[44:45], -v[28:29]
	v_fma_f64 v[84:85], v[90:91], v[32:33], -v[131:132]
	;; [unrolled: 1-line block ×4, first 2 shown]
	v_fma_f64 v[12:13], v[12:13], v[44:45], v[46:47]
	v_fma_f64 v[26:27], v[26:27], v[40:41], v[42:43]
	v_fma_f64 v[32:33], v[109:110], v[60:61], -v[137:138]
	v_fma_f64 v[36:37], v[92:93], v[56:57], -v[141:142]
	v_fma_f64 v[10:11], v[10:11], v[60:61], v[62:63]
	v_fma_f64 v[24:25], v[24:25], v[56:57], v[58:59]
	;; [unrolled: 1-line block ×4, first 2 shown]
	v_fma_f64 v[34:35], v[88:89], v[48:49], -v[139:140]
	v_fma_f64 v[38:39], v[113:114], v[52:53], -v[143:144]
	;; [unrolled: 1-line block ×6, first 2 shown]
	v_fma_f64 v[8:9], v[8:9], v[64:65], v[66:67]
	v_fma_f64 v[14:15], v[14:15], v[72:73], v[74:75]
	;; [unrolled: 1-line block ×4, first 2 shown]
	v_add_f64 v[72:73], v[22:23], v[30:31]
	v_add_f64 v[48:49], v[28:29], -v[84:85]
	v_add_f64 v[58:59], v[84:85], -v[28:29]
	;; [unrolled: 1-line block ×3, first 2 shown]
	v_add_f64 v[54:55], v[84:85], v[94:95]
	v_add_f64 v[60:61], v[94:95], -v[90:91]
	v_add_f64 v[62:63], v[28:29], v[90:91]
	v_add_f64 v[64:65], v[84:85], v[96:97]
	v_add_f64 v[76:77], v[22:23], -v[12:13]
	v_add_f64 v[78:79], v[30:31], -v[26:27]
	v_add_f64 v[112:113], v[32:33], v[36:37]
	v_add_f64 v[137:138], v[20:21], v[18:19]
	;; [unrolled: 1-line block ×3, first 2 shown]
	v_add_f64 v[56:57], v[22:23], -v[30:31]
	v_add_f64 v[66:67], v[12:13], -v[22:23]
	v_add_f64 v[22:23], v[4:5], v[22:23]
	v_add_f64 v[98:99], v[34:35], v[38:39]
	;; [unrolled: 1-line block ×3, first 2 shown]
	v_add_f64 v[70:71], v[84:85], -v[94:95]
	v_add_f64 v[84:85], v[12:13], v[26:27]
	v_add_f64 v[153:154], v[42:43], v[46:47]
	;; [unrolled: 1-line block ×5, first 2 shown]
	v_add_f64 v[106:107], v[20:21], -v[18:19]
	v_add_f64 v[133:134], v[10:11], -v[20:21]
	;; [unrolled: 1-line block ×3, first 2 shown]
	v_add_f64 v[20:21], v[2:3], v[20:21]
	v_add_f64 v[163:164], v[42:43], v[80:81]
	v_add_f64 v[155:156], v[6:7], -v[16:17]
	v_add_f64 v[165:166], v[8:9], -v[6:7]
	;; [unrolled: 1-line block ×3, first 2 shown]
	v_add_f64 v[6:7], v[0:1], v[6:7]
	v_add_f64 v[52:53], v[12:13], -v[26:27]
	v_add_f64 v[68:69], v[26:27], -v[30:31]
	;; [unrolled: 1-line block ×8, first 2 shown]
	v_add_f64 v[48:49], v[48:49], v[50:51]
	v_fma_f64 v[50:51], v[54:55], -0.5, v[96:97]
	v_add_f64 v[54:55], v[58:59], v[60:61]
	v_fma_f64 v[58:59], v[62:63], -0.5, v[96:97]
	;; [unrolled: 2-line block ×4, first 2 shown]
	v_fma_f64 v[78:79], v[137:138], -0.5, v[2:3]
	v_fma_f64 v[2:3], v[145:146], -0.5, v[2:3]
	v_add_f64 v[92:93], v[10:11], -v[24:25]
	v_add_f64 v[139:140], v[32:33], -v[36:37]
	v_add_f64 v[12:13], v[12:13], v[22:23]
	v_fma_f64 v[22:23], v[98:99], -0.5, v[82:83]
	v_add_f64 v[32:33], v[32:33], v[131:132]
	v_add_f64 v[143:144], v[18:19], -v[24:25]
	v_add_f64 v[147:148], v[40:41], -v[42:43]
	;; [unrolled: 1-line block ×4, first 2 shown]
	v_fma_f64 v[4:5], v[84:85], -0.5, v[4:5]
	v_fma_f64 v[84:85], v[153:154], -0.5, v[80:81]
	;; [unrolled: 1-line block ×5, first 2 shown]
	v_add_f64 v[151:152], v[8:9], -v[14:15]
	v_add_f64 v[171:172], v[40:41], -v[44:45]
	v_add_f64 v[10:11], v[10:11], v[20:21]
	v_add_f64 v[40:41], v[40:41], v[163:164]
	;; [unrolled: 1-line block ×6, first 2 shown]
	v_fma_f64 v[8:9], v[52:53], s[6:7], v[50:51]
	v_fma_f64 v[50:51], v[52:53], s[8:9], v[50:51]
	;; [unrolled: 1-line block ×7, first 2 shown]
	v_add_f64 v[88:89], v[36:37], -v[38:39]
	v_add_f64 v[28:29], v[90:91], v[28:29]
	v_add_f64 v[12:13], v[12:13], v[26:27]
	v_fma_f64 v[26:27], v[92:93], s[6:7], v[22:23]
	v_fma_f64 v[22:23], v[92:93], s[8:9], v[22:23]
	v_add_f64 v[32:33], v[36:37], v[32:33]
	v_fma_f64 v[36:37], v[139:140], s[8:9], v[78:79]
	v_fma_f64 v[78:79], v[139:140], s[6:7], v[78:79]
	;; [unrolled: 1-line block ×3, first 2 shown]
	v_add_f64 v[159:160], v[46:47], -v[44:45]
	v_add_f64 v[175:176], v[16:17], -v[14:15]
	v_add_f64 v[82:83], v[141:142], v[143:144]
	v_fma_f64 v[135:136], v[155:156], s[8:9], v[80:81]
	v_fma_f64 v[80:81], v[155:156], s[6:7], v[80:81]
	;; [unrolled: 1-line block ×3, first 2 shown]
	v_add_f64 v[149:150], v[44:45], -v[46:47]
	v_add_f64 v[167:168], v[14:15], -v[16:17]
	v_add_f64 v[10:11], v[10:11], v[24:25]
	v_fma_f64 v[24:25], v[151:152], s[6:7], v[84:85]
	v_fma_f64 v[84:85], v[151:152], s[8:9], v[84:85]
	v_add_f64 v[40:41], v[44:45], v[40:41]
	v_fma_f64 v[44:45], v[171:172], s[8:9], v[96:97]
	v_fma_f64 v[96:97], v[171:172], s[6:7], v[96:97]
	;; [unrolled: 1-line block ×7, first 2 shown]
	v_add_f64 v[14:15], v[6:7], v[14:15]
	v_fma_f64 v[143:144], v[56:57], s[2:3], v[8:9]
	v_fma_f64 v[50:51], v[56:57], s[4:5], v[50:51]
	;; [unrolled: 1-line block ×7, first 2 shown]
	v_add_f64 v[66:67], v[86:87], v[88:89]
	v_add_f64 v[2:3], v[94:95], v[28:29]
	v_fma_f64 v[28:29], v[106:107], s[4:5], v[22:23]
	v_add_f64 v[6:7], v[38:39], v[32:33]
	v_fma_f64 v[32:33], v[34:35], s[4:5], v[36:37]
	v_fma_f64 v[36:37], v[34:35], s[2:3], v[78:79]
	v_add_f64 v[0:1], v[12:13], v[30:31]
	v_fma_f64 v[12:13], v[106:107], s[2:3], v[26:27]
	v_fma_f64 v[78:79], v[139:140], s[4:5], v[131:132]
	v_add_f64 v[86:87], v[157:158], v[159:160]
	v_add_f64 v[98:99], v[173:174], v[175:176]
	v_fma_f64 v[80:81], v[151:152], s[4:5], v[80:81]
	v_fma_f64 v[106:107], v[171:172], s[2:3], v[141:142]
	v_add_f64 v[20:21], v[147:148], v[149:150]
	v_add_f64 v[88:89], v[165:166], v[167:168]
	v_fma_f64 v[84:85], v[155:156], s[4:5], v[84:85]
	v_fma_f64 v[96:97], v[42:43], s[2:3], v[96:97]
	;; [unrolled: 1-line block ×10, first 2 shown]
	v_add_f64 v[4:5], v[10:11], v[18:19]
	v_add_f64 v[10:11], v[46:47], v[40:41]
	;; [unrolled: 1-line block ×3, first 2 shown]
	v_fma_f64 v[42:43], v[68:69], s[0:1], v[72:73]
	v_fma_f64 v[40:41], v[82:83], s[0:1], v[92:93]
	;; [unrolled: 1-line block ×23, first 2 shown]
	v_add_co_u32 v115, vcc_lo, 0x2000, v102
	v_fma_f64 v[20:21], v[64:65], s[0:1], v[70:71]
	v_add_co_ci_u32_e32 v116, vcc_lo, 0, v103, vcc_lo
	v_add_co_u32 v60, vcc_lo, 0x3800, v102
	v_add_co_ci_u32_e32 v61, vcc_lo, 0, v103, vcc_lo
	v_add_co_u32 v62, vcc_lo, 0x4800, v102
	v_add_co_ci_u32_e32 v63, vcc_lo, 0, v103, vcc_lo
	global_store_dwordx4 v[100:101], v[4:7], off offset:1632
	global_store_dwordx4 v[100:101], v[8:11], off
	global_store_dwordx4 v[123:124], v[40:43], off offset:384
	global_store_dwordx4 v[125:126], v[32:35], off offset:1184
	global_store_dwordx4 v[119:120], v[28:31], off offset:1984
	global_store_dwordx4 v[127:128], v[36:39], off offset:736
	global_store_dwordx4 v[104:105], v[56:59], off offset:800
	global_store_dwordx4 v[117:118], v[48:51], off offset:1600
	global_store_dwordx4 v[119:120], v[44:47], off offset:352
	global_store_dwordx4 v[121:122], v[52:55], off offset:1152
	global_store_dwordx4 v[102:103], v[0:3], off
	global_store_dwordx4 v[129:130], v[24:27], off offset:800
	global_store_dwordx4 v[115:116], v[16:19], off offset:1600
	;; [unrolled: 1-line block ×4, first 2 shown]
.LBB0_25:
	s_endpgm
	.section	.rodata,"a",@progbits
	.p2align	6, 0x0
	.amdhsa_kernel fft_rtc_back_len1530_factors_17_3_6_5_wgs_102_tpt_102_halfLds_dp_op_CI_CI_unitstride_sbrr_dirReg
		.amdhsa_group_segment_fixed_size 0
		.amdhsa_private_segment_fixed_size 0
		.amdhsa_kernarg_size 104
		.amdhsa_user_sgpr_count 6
		.amdhsa_user_sgpr_private_segment_buffer 1
		.amdhsa_user_sgpr_dispatch_ptr 0
		.amdhsa_user_sgpr_queue_ptr 0
		.amdhsa_user_sgpr_kernarg_segment_ptr 1
		.amdhsa_user_sgpr_dispatch_id 0
		.amdhsa_user_sgpr_flat_scratch_init 0
		.amdhsa_user_sgpr_private_segment_size 0
		.amdhsa_wavefront_size32 1
		.amdhsa_uses_dynamic_stack 0
		.amdhsa_system_sgpr_private_segment_wavefront_offset 0
		.amdhsa_system_sgpr_workgroup_id_x 1
		.amdhsa_system_sgpr_workgroup_id_y 0
		.amdhsa_system_sgpr_workgroup_id_z 0
		.amdhsa_system_sgpr_workgroup_info 0
		.amdhsa_system_vgpr_workitem_id 0
		.amdhsa_next_free_vgpr 252
		.amdhsa_next_free_sgpr 58
		.amdhsa_reserve_vcc 1
		.amdhsa_reserve_flat_scratch 0
		.amdhsa_float_round_mode_32 0
		.amdhsa_float_round_mode_16_64 0
		.amdhsa_float_denorm_mode_32 3
		.amdhsa_float_denorm_mode_16_64 3
		.amdhsa_dx10_clamp 1
		.amdhsa_ieee_mode 1
		.amdhsa_fp16_overflow 0
		.amdhsa_workgroup_processor_mode 1
		.amdhsa_memory_ordered 1
		.amdhsa_forward_progress 0
		.amdhsa_shared_vgpr_count 0
		.amdhsa_exception_fp_ieee_invalid_op 0
		.amdhsa_exception_fp_denorm_src 0
		.amdhsa_exception_fp_ieee_div_zero 0
		.amdhsa_exception_fp_ieee_overflow 0
		.amdhsa_exception_fp_ieee_underflow 0
		.amdhsa_exception_fp_ieee_inexact 0
		.amdhsa_exception_int_div_zero 0
	.end_amdhsa_kernel
	.text
.Lfunc_end0:
	.size	fft_rtc_back_len1530_factors_17_3_6_5_wgs_102_tpt_102_halfLds_dp_op_CI_CI_unitstride_sbrr_dirReg, .Lfunc_end0-fft_rtc_back_len1530_factors_17_3_6_5_wgs_102_tpt_102_halfLds_dp_op_CI_CI_unitstride_sbrr_dirReg
                                        ; -- End function
	.section	.AMDGPU.csdata,"",@progbits
; Kernel info:
; codeLenInByte = 15720
; NumSgprs: 60
; NumVgprs: 252
; ScratchSize: 0
; MemoryBound: 1
; FloatMode: 240
; IeeeMode: 1
; LDSByteSize: 0 bytes/workgroup (compile time only)
; SGPRBlocks: 7
; VGPRBlocks: 31
; NumSGPRsForWavesPerEU: 60
; NumVGPRsForWavesPerEU: 252
; Occupancy: 4
; WaveLimiterHint : 1
; COMPUTE_PGM_RSRC2:SCRATCH_EN: 0
; COMPUTE_PGM_RSRC2:USER_SGPR: 6
; COMPUTE_PGM_RSRC2:TRAP_HANDLER: 0
; COMPUTE_PGM_RSRC2:TGID_X_EN: 1
; COMPUTE_PGM_RSRC2:TGID_Y_EN: 0
; COMPUTE_PGM_RSRC2:TGID_Z_EN: 0
; COMPUTE_PGM_RSRC2:TIDIG_COMP_CNT: 0
	.text
	.p2alignl 6, 3214868480
	.fill 48, 4, 3214868480
	.type	__hip_cuid_b8e749ada09403c,@object ; @__hip_cuid_b8e749ada09403c
	.section	.bss,"aw",@nobits
	.globl	__hip_cuid_b8e749ada09403c
__hip_cuid_b8e749ada09403c:
	.byte	0                               ; 0x0
	.size	__hip_cuid_b8e749ada09403c, 1

	.ident	"AMD clang version 19.0.0git (https://github.com/RadeonOpenCompute/llvm-project roc-6.4.0 25133 c7fe45cf4b819c5991fe208aaa96edf142730f1d)"
	.section	".note.GNU-stack","",@progbits
	.addrsig
	.addrsig_sym __hip_cuid_b8e749ada09403c
	.amdgpu_metadata
---
amdhsa.kernels:
  - .args:
      - .actual_access:  read_only
        .address_space:  global
        .offset:         0
        .size:           8
        .value_kind:     global_buffer
      - .offset:         8
        .size:           8
        .value_kind:     by_value
      - .actual_access:  read_only
        .address_space:  global
        .offset:         16
        .size:           8
        .value_kind:     global_buffer
      - .actual_access:  read_only
        .address_space:  global
        .offset:         24
        .size:           8
        .value_kind:     global_buffer
      - .actual_access:  read_only
        .address_space:  global
        .offset:         32
        .size:           8
        .value_kind:     global_buffer
      - .offset:         40
        .size:           8
        .value_kind:     by_value
      - .actual_access:  read_only
        .address_space:  global
        .offset:         48
        .size:           8
        .value_kind:     global_buffer
      - .actual_access:  read_only
        .address_space:  global
        .offset:         56
        .size:           8
        .value_kind:     global_buffer
      - .offset:         64
        .size:           4
        .value_kind:     by_value
      - .actual_access:  read_only
        .address_space:  global
        .offset:         72
        .size:           8
        .value_kind:     global_buffer
      - .actual_access:  read_only
        .address_space:  global
        .offset:         80
        .size:           8
        .value_kind:     global_buffer
      - .actual_access:  read_only
        .address_space:  global
        .offset:         88
        .size:           8
        .value_kind:     global_buffer
      - .actual_access:  write_only
        .address_space:  global
        .offset:         96
        .size:           8
        .value_kind:     global_buffer
    .group_segment_fixed_size: 0
    .kernarg_segment_align: 8
    .kernarg_segment_size: 104
    .language:       OpenCL C
    .language_version:
      - 2
      - 0
    .max_flat_workgroup_size: 102
    .name:           fft_rtc_back_len1530_factors_17_3_6_5_wgs_102_tpt_102_halfLds_dp_op_CI_CI_unitstride_sbrr_dirReg
    .private_segment_fixed_size: 0
    .sgpr_count:     60
    .sgpr_spill_count: 0
    .symbol:         fft_rtc_back_len1530_factors_17_3_6_5_wgs_102_tpt_102_halfLds_dp_op_CI_CI_unitstride_sbrr_dirReg.kd
    .uniform_work_group_size: 1
    .uses_dynamic_stack: false
    .vgpr_count:     252
    .vgpr_spill_count: 0
    .wavefront_size: 32
    .workgroup_processor_mode: 1
amdhsa.target:   amdgcn-amd-amdhsa--gfx1030
amdhsa.version:
  - 1
  - 2
...

	.end_amdgpu_metadata
